;; amdgpu-corpus repo=ROCm/rocFFT kind=compiled arch=gfx1201 opt=O3
	.text
	.amdgcn_target "amdgcn-amd-amdhsa--gfx1201"
	.amdhsa_code_object_version 6
	.protected	fft_rtc_fwd_len1375_factors_11_5_5_5_wgs_55_tpt_55_halfLds_dp_ip_CI_sbrr_dirReg ; -- Begin function fft_rtc_fwd_len1375_factors_11_5_5_5_wgs_55_tpt_55_halfLds_dp_ip_CI_sbrr_dirReg
	.globl	fft_rtc_fwd_len1375_factors_11_5_5_5_wgs_55_tpt_55_halfLds_dp_ip_CI_sbrr_dirReg
	.p2align	8
	.type	fft_rtc_fwd_len1375_factors_11_5_5_5_wgs_55_tpt_55_halfLds_dp_ip_CI_sbrr_dirReg,@function
fft_rtc_fwd_len1375_factors_11_5_5_5_wgs_55_tpt_55_halfLds_dp_ip_CI_sbrr_dirReg: ; @fft_rtc_fwd_len1375_factors_11_5_5_5_wgs_55_tpt_55_halfLds_dp_ip_CI_sbrr_dirReg
; %bb.0:
	s_clause 0x2
	s_load_b64 s[12:13], s[0:1], 0x18
	s_load_b128 s[4:7], s[0:1], 0x0
	s_load_b64 s[10:11], s[0:1], 0x50
	v_mul_u32_u24_e32 v1, 0x4a8, v0
	v_mov_b32_e32 v3, 0
	s_delay_alu instid0(VALU_DEP_2) | instskip(NEXT) | instid1(VALU_DEP_1)
	v_lshrrev_b32_e32 v1, 16, v1
	v_add_nc_u32_e32 v5, ttmp9, v1
	v_mov_b32_e32 v1, 0
	v_mov_b32_e32 v2, 0
	;; [unrolled: 1-line block ×3, first 2 shown]
	s_wait_kmcnt 0x0
	s_load_b64 s[8:9], s[12:13], 0x0
	v_cmp_lt_u64_e64 s2, s[6:7], 2
	s_delay_alu instid0(VALU_DEP_1)
	s_and_b32 vcc_lo, exec_lo, s2
	s_cbranch_vccnz .LBB0_8
; %bb.1:
	s_load_b64 s[2:3], s[0:1], 0x10
	v_mov_b32_e32 v1, 0
	v_mov_b32_e32 v2, 0
	s_add_nc_u64 s[14:15], s[12:13], 8
	s_mov_b64 s[16:17], 1
	s_wait_kmcnt 0x0
	s_add_nc_u64 s[18:19], s[2:3], 8
	s_mov_b32 s3, 0
.LBB0_2:                                ; =>This Inner Loop Header: Depth=1
	s_load_b64 s[20:21], s[18:19], 0x0
                                        ; implicit-def: $vgpr7_vgpr8
	s_mov_b32 s2, exec_lo
	s_wait_kmcnt 0x0
	v_or_b32_e32 v4, s21, v6
	s_delay_alu instid0(VALU_DEP_1)
	v_cmpx_ne_u64_e32 0, v[3:4]
	s_wait_alu 0xfffe
	s_xor_b32 s22, exec_lo, s2
	s_cbranch_execz .LBB0_4
; %bb.3:                                ;   in Loop: Header=BB0_2 Depth=1
	s_cvt_f32_u32 s2, s20
	s_cvt_f32_u32 s23, s21
	s_sub_nc_u64 s[26:27], 0, s[20:21]
	s_wait_alu 0xfffe
	s_delay_alu instid0(SALU_CYCLE_1) | instskip(SKIP_1) | instid1(SALU_CYCLE_2)
	s_fmamk_f32 s2, s23, 0x4f800000, s2
	s_wait_alu 0xfffe
	v_s_rcp_f32 s2, s2
	s_delay_alu instid0(TRANS32_DEP_1) | instskip(SKIP_1) | instid1(SALU_CYCLE_2)
	s_mul_f32 s2, s2, 0x5f7ffffc
	s_wait_alu 0xfffe
	s_mul_f32 s23, s2, 0x2f800000
	s_wait_alu 0xfffe
	s_delay_alu instid0(SALU_CYCLE_2) | instskip(SKIP_1) | instid1(SALU_CYCLE_2)
	s_trunc_f32 s23, s23
	s_wait_alu 0xfffe
	s_fmamk_f32 s2, s23, 0xcf800000, s2
	s_cvt_u32_f32 s25, s23
	s_wait_alu 0xfffe
	s_delay_alu instid0(SALU_CYCLE_1) | instskip(SKIP_1) | instid1(SALU_CYCLE_2)
	s_cvt_u32_f32 s24, s2
	s_wait_alu 0xfffe
	s_mul_u64 s[28:29], s[26:27], s[24:25]
	s_wait_alu 0xfffe
	s_mul_hi_u32 s31, s24, s29
	s_mul_i32 s30, s24, s29
	s_mul_hi_u32 s2, s24, s28
	s_mul_i32 s33, s25, s28
	s_wait_alu 0xfffe
	s_add_nc_u64 s[30:31], s[2:3], s[30:31]
	s_mul_hi_u32 s23, s25, s28
	s_mul_hi_u32 s34, s25, s29
	s_add_co_u32 s2, s30, s33
	s_wait_alu 0xfffe
	s_add_co_ci_u32 s2, s31, s23
	s_mul_i32 s28, s25, s29
	s_add_co_ci_u32 s29, s34, 0
	s_wait_alu 0xfffe
	s_add_nc_u64 s[28:29], s[2:3], s[28:29]
	s_wait_alu 0xfffe
	v_add_co_u32 v4, s2, s24, s28
	s_delay_alu instid0(VALU_DEP_1) | instskip(SKIP_1) | instid1(VALU_DEP_1)
	s_cmp_lg_u32 s2, 0
	s_add_co_ci_u32 s25, s25, s29
	v_readfirstlane_b32 s24, v4
	s_wait_alu 0xfffe
	s_delay_alu instid0(VALU_DEP_1)
	s_mul_u64 s[26:27], s[26:27], s[24:25]
	s_wait_alu 0xfffe
	s_mul_hi_u32 s29, s24, s27
	s_mul_i32 s28, s24, s27
	s_mul_hi_u32 s2, s24, s26
	s_mul_i32 s30, s25, s26
	s_wait_alu 0xfffe
	s_add_nc_u64 s[28:29], s[2:3], s[28:29]
	s_mul_hi_u32 s23, s25, s26
	s_mul_hi_u32 s24, s25, s27
	s_wait_alu 0xfffe
	s_add_co_u32 s2, s28, s30
	s_add_co_ci_u32 s2, s29, s23
	s_mul_i32 s26, s25, s27
	s_add_co_ci_u32 s27, s24, 0
	s_wait_alu 0xfffe
	s_add_nc_u64 s[26:27], s[2:3], s[26:27]
	s_wait_alu 0xfffe
	v_add_co_u32 v4, s2, v4, s26
	s_delay_alu instid0(VALU_DEP_1) | instskip(SKIP_1) | instid1(VALU_DEP_1)
	s_cmp_lg_u32 s2, 0
	s_add_co_ci_u32 s2, s25, s27
	v_mul_hi_u32 v13, v5, v4
	s_wait_alu 0xfffe
	v_mad_co_u64_u32 v[7:8], null, v5, s2, 0
	v_mad_co_u64_u32 v[9:10], null, v6, v4, 0
	;; [unrolled: 1-line block ×3, first 2 shown]
	s_delay_alu instid0(VALU_DEP_3) | instskip(SKIP_1) | instid1(VALU_DEP_4)
	v_add_co_u32 v4, vcc_lo, v13, v7
	s_wait_alu 0xfffd
	v_add_co_ci_u32_e32 v7, vcc_lo, 0, v8, vcc_lo
	s_delay_alu instid0(VALU_DEP_2) | instskip(SKIP_1) | instid1(VALU_DEP_2)
	v_add_co_u32 v4, vcc_lo, v4, v9
	s_wait_alu 0xfffd
	v_add_co_ci_u32_e32 v4, vcc_lo, v7, v10, vcc_lo
	s_wait_alu 0xfffd
	v_add_co_ci_u32_e32 v7, vcc_lo, 0, v12, vcc_lo
	s_delay_alu instid0(VALU_DEP_2) | instskip(SKIP_1) | instid1(VALU_DEP_2)
	v_add_co_u32 v4, vcc_lo, v4, v11
	s_wait_alu 0xfffd
	v_add_co_ci_u32_e32 v9, vcc_lo, 0, v7, vcc_lo
	s_delay_alu instid0(VALU_DEP_2) | instskip(SKIP_1) | instid1(VALU_DEP_3)
	v_mul_lo_u32 v10, s21, v4
	v_mad_co_u64_u32 v[7:8], null, s20, v4, 0
	v_mul_lo_u32 v11, s20, v9
	s_delay_alu instid0(VALU_DEP_2) | instskip(NEXT) | instid1(VALU_DEP_2)
	v_sub_co_u32 v7, vcc_lo, v5, v7
	v_add3_u32 v8, v8, v11, v10
	s_delay_alu instid0(VALU_DEP_1) | instskip(SKIP_1) | instid1(VALU_DEP_1)
	v_sub_nc_u32_e32 v10, v6, v8
	s_wait_alu 0xfffd
	v_subrev_co_ci_u32_e64 v10, s2, s21, v10, vcc_lo
	v_add_co_u32 v11, s2, v4, 2
	s_wait_alu 0xf1ff
	v_add_co_ci_u32_e64 v12, s2, 0, v9, s2
	v_sub_co_u32 v13, s2, v7, s20
	v_sub_co_ci_u32_e32 v8, vcc_lo, v6, v8, vcc_lo
	s_wait_alu 0xf1ff
	v_subrev_co_ci_u32_e64 v10, s2, 0, v10, s2
	s_delay_alu instid0(VALU_DEP_3) | instskip(NEXT) | instid1(VALU_DEP_3)
	v_cmp_le_u32_e32 vcc_lo, s20, v13
	v_cmp_eq_u32_e64 s2, s21, v8
	s_wait_alu 0xfffd
	v_cndmask_b32_e64 v13, 0, -1, vcc_lo
	v_cmp_le_u32_e32 vcc_lo, s21, v10
	s_wait_alu 0xfffd
	v_cndmask_b32_e64 v14, 0, -1, vcc_lo
	v_cmp_le_u32_e32 vcc_lo, s20, v7
	;; [unrolled: 3-line block ×3, first 2 shown]
	s_wait_alu 0xfffd
	v_cndmask_b32_e64 v15, 0, -1, vcc_lo
	v_cmp_eq_u32_e32 vcc_lo, s21, v10
	s_wait_alu 0xf1ff
	s_delay_alu instid0(VALU_DEP_2)
	v_cndmask_b32_e64 v7, v15, v7, s2
	s_wait_alu 0xfffd
	v_cndmask_b32_e32 v10, v14, v13, vcc_lo
	v_add_co_u32 v13, vcc_lo, v4, 1
	s_wait_alu 0xfffd
	v_add_co_ci_u32_e32 v14, vcc_lo, 0, v9, vcc_lo
	s_delay_alu instid0(VALU_DEP_3) | instskip(SKIP_2) | instid1(VALU_DEP_3)
	v_cmp_ne_u32_e32 vcc_lo, 0, v10
	s_wait_alu 0xfffd
	v_cndmask_b32_e32 v10, v13, v11, vcc_lo
	v_cndmask_b32_e32 v8, v14, v12, vcc_lo
	v_cmp_ne_u32_e32 vcc_lo, 0, v7
	s_wait_alu 0xfffd
	s_delay_alu instid0(VALU_DEP_2)
	v_dual_cndmask_b32 v7, v4, v10 :: v_dual_cndmask_b32 v8, v9, v8
.LBB0_4:                                ;   in Loop: Header=BB0_2 Depth=1
	s_wait_alu 0xfffe
	s_and_not1_saveexec_b32 s2, s22
	s_cbranch_execz .LBB0_6
; %bb.5:                                ;   in Loop: Header=BB0_2 Depth=1
	v_cvt_f32_u32_e32 v4, s20
	s_sub_co_i32 s22, 0, s20
	s_delay_alu instid0(VALU_DEP_1) | instskip(NEXT) | instid1(TRANS32_DEP_1)
	v_rcp_iflag_f32_e32 v4, v4
	v_mul_f32_e32 v4, 0x4f7ffffe, v4
	s_delay_alu instid0(VALU_DEP_1) | instskip(SKIP_1) | instid1(VALU_DEP_1)
	v_cvt_u32_f32_e32 v4, v4
	s_wait_alu 0xfffe
	v_mul_lo_u32 v7, s22, v4
	s_delay_alu instid0(VALU_DEP_1) | instskip(NEXT) | instid1(VALU_DEP_1)
	v_mul_hi_u32 v7, v4, v7
	v_add_nc_u32_e32 v4, v4, v7
	s_delay_alu instid0(VALU_DEP_1) | instskip(NEXT) | instid1(VALU_DEP_1)
	v_mul_hi_u32 v4, v5, v4
	v_mul_lo_u32 v7, v4, s20
	v_add_nc_u32_e32 v8, 1, v4
	s_delay_alu instid0(VALU_DEP_2) | instskip(NEXT) | instid1(VALU_DEP_1)
	v_sub_nc_u32_e32 v7, v5, v7
	v_subrev_nc_u32_e32 v9, s20, v7
	v_cmp_le_u32_e32 vcc_lo, s20, v7
	s_wait_alu 0xfffd
	s_delay_alu instid0(VALU_DEP_2) | instskip(NEXT) | instid1(VALU_DEP_1)
	v_dual_cndmask_b32 v7, v7, v9 :: v_dual_cndmask_b32 v4, v4, v8
	v_cmp_le_u32_e32 vcc_lo, s20, v7
	s_delay_alu instid0(VALU_DEP_2) | instskip(SKIP_1) | instid1(VALU_DEP_1)
	v_add_nc_u32_e32 v8, 1, v4
	s_wait_alu 0xfffd
	v_dual_cndmask_b32 v7, v4, v8 :: v_dual_mov_b32 v8, v3
.LBB0_6:                                ;   in Loop: Header=BB0_2 Depth=1
	s_wait_alu 0xfffe
	s_or_b32 exec_lo, exec_lo, s2
	s_load_b64 s[22:23], s[14:15], 0x0
	s_delay_alu instid0(VALU_DEP_1)
	v_mul_lo_u32 v4, v8, s20
	v_mul_lo_u32 v11, v7, s21
	v_mad_co_u64_u32 v[9:10], null, v7, s20, 0
	s_add_nc_u64 s[16:17], s[16:17], 1
	s_add_nc_u64 s[14:15], s[14:15], 8
	s_wait_alu 0xfffe
	v_cmp_ge_u64_e64 s2, s[16:17], s[6:7]
	s_add_nc_u64 s[18:19], s[18:19], 8
	s_delay_alu instid0(VALU_DEP_2) | instskip(NEXT) | instid1(VALU_DEP_3)
	v_add3_u32 v4, v10, v11, v4
	v_sub_co_u32 v5, vcc_lo, v5, v9
	s_wait_alu 0xfffd
	s_delay_alu instid0(VALU_DEP_2) | instskip(SKIP_3) | instid1(VALU_DEP_2)
	v_sub_co_ci_u32_e32 v4, vcc_lo, v6, v4, vcc_lo
	s_and_b32 vcc_lo, exec_lo, s2
	s_wait_kmcnt 0x0
	v_mul_lo_u32 v6, s23, v5
	v_mul_lo_u32 v4, s22, v4
	v_mad_co_u64_u32 v[1:2], null, s22, v5, v[1:2]
	s_delay_alu instid0(VALU_DEP_1)
	v_add3_u32 v2, v6, v2, v4
	s_wait_alu 0xfffe
	s_cbranch_vccnz .LBB0_9
; %bb.7:                                ;   in Loop: Header=BB0_2 Depth=1
	v_dual_mov_b32 v5, v7 :: v_dual_mov_b32 v6, v8
	s_branch .LBB0_2
.LBB0_8:
	v_dual_mov_b32 v8, v6 :: v_dual_mov_b32 v7, v5
.LBB0_9:
	s_lshl_b64 s[2:3], s[6:7], 3
	v_mul_hi_u32 v3, 0x4a7904b, v0
	s_wait_alu 0xfffe
	s_add_nc_u64 s[2:3], s[12:13], s[2:3]
                                        ; implicit-def: $vgpr186
	s_load_b64 s[2:3], s[2:3], 0x0
	s_load_b64 s[0:1], s[0:1], 0x20
	s_delay_alu instid0(VALU_DEP_1) | instskip(NEXT) | instid1(VALU_DEP_1)
	v_mul_u32_u24_e32 v3, 55, v3
	v_sub_nc_u32_e32 v184, v0, v3
	s_delay_alu instid0(VALU_DEP_1)
	v_add_nc_u32_e32 v185, 55, v184
	s_wait_kmcnt 0x0
	v_mul_lo_u32 v4, s2, v8
	v_mul_lo_u32 v5, s3, v7
	v_mad_co_u64_u32 v[1:2], null, s2, v7, v[1:2]
	v_cmp_gt_u64_e32 vcc_lo, s[0:1], v[7:8]
	v_cmp_le_u64_e64 s0, s[0:1], v[7:8]
	s_delay_alu instid0(VALU_DEP_3) | instskip(NEXT) | instid1(VALU_DEP_2)
	v_add3_u32 v2, v5, v2, v4
	s_and_saveexec_b32 s1, s0
	s_wait_alu 0xfffe
	s_xor_b32 s0, exec_lo, s1
; %bb.10:
	v_add_nc_u32_e32 v186, 55, v184
; %bb.11:
	s_wait_alu 0xfffe
	s_or_saveexec_b32 s1, s0
	v_lshlrev_b64_e32 v[176:177], 4, v[1:2]
                                        ; implicit-def: $vgpr18_vgpr19
                                        ; implicit-def: $vgpr26_vgpr27
                                        ; implicit-def: $vgpr34_vgpr35
                                        ; implicit-def: $vgpr62_vgpr63
                                        ; implicit-def: $vgpr54_vgpr55
                                        ; implicit-def: $vgpr42_vgpr43
                                        ; implicit-def: $vgpr74_vgpr75
                                        ; implicit-def: $vgpr50_vgpr51
                                        ; implicit-def: $vgpr58_vgpr59
                                        ; implicit-def: $vgpr66_vgpr67
                                        ; implicit-def: $vgpr6_vgpr7
                                        ; implicit-def: $vgpr86_vgpr87
                                        ; implicit-def: $vgpr90_vgpr91
                                        ; implicit-def: $vgpr98_vgpr99
                                        ; implicit-def: $vgpr102_vgpr103
                                        ; implicit-def: $vgpr110_vgpr111
                                        ; implicit-def: $vgpr118_vgpr119
                                        ; implicit-def: $vgpr114_vgpr115
                                        ; implicit-def: $vgpr122_vgpr123
                                        ; implicit-def: $vgpr126_vgpr127
                                        ; implicit-def: $vgpr130_vgpr131
                                        ; implicit-def: $vgpr78_vgpr79
                                        ; implicit-def: $vgpr14_vgpr15
                                        ; implicit-def: $vgpr10_vgpr11
                                        ; implicit-def: $vgpr22_vgpr23
                                        ; implicit-def: $vgpr30_vgpr31
                                        ; implicit-def: $vgpr46_vgpr47
                                        ; implicit-def: $vgpr38_vgpr39
                                        ; implicit-def: $vgpr70_vgpr71
                                        ; implicit-def: $vgpr82_vgpr83
                                        ; implicit-def: $vgpr106_vgpr107
                                        ; implicit-def: $vgpr94_vgpr95
                                        ; implicit-def: $vgpr2_vgpr3
	s_wait_alu 0xfffe
	s_xor_b32 exec_lo, exec_lo, s1
	s_cbranch_execz .LBB0_15
; %bb.12:
	v_add_nc_u32_e32 v9, 0x7d, v184
	v_mad_co_u64_u32 v[0:1], null, s8, v184, 0
	v_add_nc_u32_e32 v11, 0xfa, v184
	v_add_co_u32 v18, s0, s10, v176
	s_delay_alu instid0(VALU_DEP_4)
	v_mad_co_u64_u32 v[2:3], null, s8, v9, 0
	v_add_nc_u32_e32 v14, 0x177, v184
	s_wait_alu 0xf1ff
	v_add_co_ci_u32_e64 v19, s0, s11, v177, s0
	v_add_nc_u32_e32 v15, 0x1f4, v184
	v_add_nc_u32_e32 v20, 0x2ee, v184
	;; [unrolled: 1-line block ×3, first 2 shown]
	v_mad_co_u64_u32 v[4:5], null, s9, v184, v[1:2]
	v_mov_b32_e32 v1, v3
	v_mad_co_u64_u32 v[5:6], null, s8, v11, 0
	v_mad_co_u64_u32 v[7:8], null, s8, v14, 0
	s_delay_alu instid0(VALU_DEP_3) | instskip(SKIP_1) | instid1(VALU_DEP_4)
	v_mad_co_u64_u32 v[9:10], null, s9, v9, v[1:2]
	v_dual_mov_b32 v1, v4 :: v_dual_add_nc_u32 v16, 0x271, v184
	v_mov_b32_e32 v4, v6
	v_mad_co_u64_u32 v[12:13], null, s8, v15, 0
	s_delay_alu instid0(VALU_DEP_3) | instskip(SKIP_1) | instid1(VALU_DEP_4)
	v_lshlrev_b64_e32 v[0:1], 4, v[0:1]
	v_mov_b32_e32 v3, v9
	v_mad_co_u64_u32 v[9:10], null, s9, v11, v[4:5]
	v_mad_co_u64_u32 v[24:25], null, s8, v34, 0
	s_delay_alu instid0(VALU_DEP_3) | instskip(SKIP_4) | instid1(VALU_DEP_4)
	v_lshlrev_b64_e32 v[2:3], 4, v[2:3]
	v_add_co_u32 v0, s0, v18, v0
	s_wait_alu 0xf1ff
	v_add_co_ci_u32_e64 v1, s0, v19, v1, s0
	v_mov_b32_e32 v6, v9
	v_add_co_u32 v10, s0, v18, v2
	s_wait_alu 0xf1ff
	v_add_co_ci_u32_e64 v11, s0, v19, v3, s0
	v_mad_co_u64_u32 v[8:9], null, s9, v14, v[8:9]
	s_clause 0x1
	global_load_b128 v[0:3], v[0:1], off
	global_load_b128 v[92:95], v[10:11], off
	v_mad_co_u64_u32 v[9:10], null, s8, v16, 0
	v_lshlrev_b64_e32 v[4:5], 4, v[5:6]
	v_mov_b32_e32 v6, v13
	v_add_nc_u32_e32 v26, 0xb4, v184
	v_add_nc_u32_e32 v43, 0x519, v184
	s_mov_b32 s2, exec_lo
                                        ; implicit-def: $vgpr64_vgpr65
                                        ; implicit-def: $vgpr56_vgpr57
                                        ; implicit-def: $vgpr48_vgpr49
                                        ; implicit-def: $vgpr72_vgpr73
                                        ; implicit-def: $vgpr52_vgpr53
                                        ; implicit-def: $vgpr60_vgpr61
	v_add_nc_u32_e32 v23, 0x465, v184
	v_mad_co_u64_u32 v[13:14], null, s9, v15, v[6:7]
	v_lshlrev_b64_e32 v[7:8], 4, v[7:8]
	v_mov_b32_e32 v6, v10
	v_mad_co_u64_u32 v[14:15], null, s8, v20, 0
	v_add_co_u32 v4, s0, v18, v4
	s_delay_alu instid0(VALU_DEP_3)
	v_mad_co_u64_u32 v[10:11], null, s9, v16, v[6:7]
	s_wait_alu 0xf1ff
	v_add_co_ci_u32_e64 v5, s0, v19, v5, s0
	v_add_co_u32 v6, s0, v18, v7
	s_wait_alu 0xf1ff
	v_add_co_ci_u32_e64 v7, s0, v19, v8, s0
	s_delay_alu instid0(VALU_DEP_4) | instskip(SKIP_4) | instid1(VALU_DEP_4)
	v_lshlrev_b64_e32 v[9:10], 4, v[9:10]
	v_mov_b32_e32 v8, v15
	v_lshlrev_b64_e32 v[11:12], 4, v[12:13]
	v_add_nc_u32_e32 v13, 0x3e8, v184
	v_add_nc_u32_e32 v35, 0x1ae, v184
	v_mad_co_u64_u32 v[20:21], null, s9, v20, v[8:9]
	v_add_nc_u32_e32 v22, 0x36b, v184
	v_add_co_u32 v11, s0, v18, v11
	s_wait_alu 0xf1ff
	v_add_co_ci_u32_e64 v12, s0, v19, v12, s0
	v_add_co_u32 v9, s0, v18, v9
	v_mov_b32_e32 v15, v20
	v_mad_co_u64_u32 v[16:17], null, s8, v22, 0
	s_wait_alu 0xf1ff
	v_add_co_ci_u32_e64 v10, s0, v19, v10, s0
	s_clause 0x3
	global_load_b128 v[104:107], v[4:5], off
	global_load_b128 v[80:83], v[6:7], off
	;; [unrolled: 1-line block ×4, first 2 shown]
	v_lshlrev_b64_e32 v[4:5], 4, v[14:15]
	v_mad_co_u64_u32 v[14:15], null, s8, v185, 0
	v_mov_b32_e32 v8, v17
	v_mad_co_u64_u32 v[32:33], null, s8, v35, 0
	s_delay_alu instid0(VALU_DEP_4) | instskip(NEXT) | instid1(VALU_DEP_3)
	v_add_co_u32 v4, s0, v18, v4
	v_mad_co_u64_u32 v[20:21], null, s9, v22, v[8:9]
	v_mad_co_u64_u32 v[21:22], null, s8, v13, 0
	;; [unrolled: 1-line block ×3, first 2 shown]
	s_wait_alu 0xf1ff
	v_add_co_ci_u32_e64 v5, s0, v19, v5, s0
	s_delay_alu instid0(VALU_DEP_3) | instskip(NEXT) | instid1(VALU_DEP_1)
	v_dual_mov_b32 v17, v20 :: v_dual_mov_b32 v6, v22
	v_lshlrev_b64_e32 v[9:10], 4, v[16:17]
	v_add_nc_u32_e32 v16, 0x4e2, v184
	s_delay_alu instid0(VALU_DEP_3) | instskip(SKIP_1) | instid1(VALU_DEP_3)
	v_mad_co_u64_u32 v[11:12], null, s9, v13, v[6:7]
	v_mov_b32_e32 v6, v8
	v_mad_co_u64_u32 v[12:13], null, s8, v16, 0
	v_add_co_u32 v8, s0, v18, v9
	s_wait_alu 0xf1ff
	v_add_co_ci_u32_e64 v9, s0, v19, v10, s0
	v_mov_b32_e32 v22, v11
	v_mad_co_u64_u32 v[10:11], null, s9, v23, v[6:7]
	v_mov_b32_e32 v6, v13
	s_clause 0x1
	global_load_b128 v[44:47], v[4:5], off
	global_load_b128 v[28:31], v[8:9], off
	v_lshlrev_b64_e32 v[4:5], 4, v[21:22]
	v_mad_co_u64_u32 v[16:17], null, s9, v16, v[6:7]
	v_mov_b32_e32 v8, v10
	v_mov_b32_e32 v6, v15
	s_delay_alu instid0(VALU_DEP_4) | instskip(SKIP_4) | instid1(VALU_DEP_2)
	v_add_co_u32 v4, s0, v18, v4
	s_wait_alu 0xf1ff
	v_add_co_ci_u32_e64 v5, s0, v19, v5, s0
	v_lshlrev_b64_e32 v[7:8], 4, v[7:8]
	v_mov_b32_e32 v13, v16
	v_mad_co_u64_u32 v[15:16], null, s9, v185, v[6:7]
	v_add_co_u32 v6, s0, v18, v7
	s_wait_alu 0xf1ff
	s_delay_alu instid0(VALU_DEP_4)
	v_add_co_ci_u32_e64 v7, s0, v19, v8, s0
	s_clause 0x1
	global_load_b128 v[20:23], v[4:5], off
	global_load_b128 v[8:11], v[6:7], off
	v_mad_co_u64_u32 v[16:17], null, s8, v26, 0
	v_lshlrev_b64_e32 v[12:13], 4, v[12:13]
	s_delay_alu instid0(VALU_DEP_2) | instskip(NEXT) | instid1(VALU_DEP_2)
	v_mov_b32_e32 v6, v17
	v_add_co_u32 v4, s0, v18, v12
	s_wait_alu 0xf1ff
	s_delay_alu instid0(VALU_DEP_3) | instskip(NEXT) | instid1(VALU_DEP_3)
	v_add_co_ci_u32_e64 v5, s0, v19, v13, s0
	v_mad_co_u64_u32 v[6:7], null, s9, v26, v[6:7]
	v_lshlrev_b64_e32 v[12:13], 4, v[14:15]
	v_mov_b32_e32 v7, v25
	s_delay_alu instid0(VALU_DEP_3) | instskip(NEXT) | instid1(VALU_DEP_3)
	v_mov_b32_e32 v17, v6
	v_add_co_u32 v26, s0, v18, v12
	s_wait_alu 0xf1ff
	s_delay_alu instid0(VALU_DEP_4) | instskip(SKIP_4) | instid1(VALU_DEP_1)
	v_add_co_ci_u32_e64 v27, s0, v19, v13, s0
	s_clause 0x1
	global_load_b128 v[12:15], v[4:5], off
	global_load_b128 v[76:79], v[26:27], off
	v_lshlrev_b64_e32 v[4:5], 4, v[16:17]
	v_add_co_u32 v4, s0, v18, v4
	s_wait_alu 0xf1ff
	s_delay_alu instid0(VALU_DEP_2) | instskip(SKIP_3) | instid1(VALU_DEP_1)
	v_add_co_ci_u32_e64 v5, s0, v19, v5, s0
	s_wait_loadcnt 0x2
	v_mad_co_u64_u32 v[6:7], null, s9, v34, v[7:8]
	v_dual_mov_b32 v7, v33 :: v_dual_add_nc_u32 v34, 0x22b, v184
	v_mad_co_u64_u32 v[16:17], null, s8, v34, 0
	s_delay_alu instid0(VALU_DEP_3) | instskip(NEXT) | instid1(VALU_DEP_3)
	v_mov_b32_e32 v25, v6
	v_mad_co_u64_u32 v[6:7], null, s9, v35, v[7:8]
	v_add_nc_u32_e32 v35, 0x2a8, v184
	s_delay_alu instid0(VALU_DEP_3) | instskip(SKIP_1) | instid1(VALU_DEP_3)
	v_lshlrev_b64_e32 v[24:25], 4, v[24:25]
	v_mov_b32_e32 v7, v17
	v_mad_co_u64_u32 v[26:27], null, s8, v35, 0
	v_mov_b32_e32 v33, v6
	s_delay_alu instid0(VALU_DEP_3) | instskip(SKIP_4) | instid1(VALU_DEP_4)
	v_mad_co_u64_u32 v[6:7], null, s9, v34, v[7:8]
	v_add_co_u32 v24, s0, v18, v24
	s_wait_alu 0xf1ff
	v_add_co_ci_u32_e64 v25, s0, v19, v25, s0
	v_mad_co_u64_u32 v[34:35], null, s9, v35, v[27:28]
	v_dual_mov_b32 v17, v6 :: v_dual_add_nc_u32 v40, 0x325, v184
	v_lshlrev_b64_e32 v[6:7], 4, v[32:33]
	s_clause 0x1
	global_load_b128 v[128:131], v[4:5], off
	global_load_b128 v[124:127], v[24:25], off
	v_add_nc_u32_e32 v35, 0x41f, v184
	v_mov_b32_e32 v27, v34
	v_mad_co_u64_u32 v[32:33], null, s8, v40, 0
	v_lshlrev_b64_e32 v[16:17], 4, v[16:17]
	v_add_co_u32 v6, s0, v18, v6
	s_wait_alu 0xf1ff
	v_add_co_ci_u32_e64 v7, s0, v19, v7, s0
	v_mad_co_u64_u32 v[24:25], null, s8, v35, 0
	v_mad_co_u64_u32 v[33:34], null, s9, v40, v[33:34]
	;; [unrolled: 1-line block ×3, first 2 shown]
	v_add_nc_u32_e32 v34, 0x3a2, v184
	v_add_co_u32 v16, s0, v18, v16
	s_wait_alu 0xf1ff
	v_add_co_ci_u32_e64 v17, s0, v19, v17, s0
	s_delay_alu instid0(VALU_DEP_3)
	v_mad_co_u64_u32 v[4:5], null, s8, v34, 0
	s_clause 0x1
	global_load_b128 v[120:123], v[6:7], off
	global_load_b128 v[112:115], v[16:17], off
	v_lshlrev_b64_e32 v[6:7], 4, v[26:27]
	v_lshlrev_b64_e32 v[32:33], 4, v[32:33]
	s_delay_alu instid0(VALU_DEP_2) | instskip(SKIP_2) | instid1(VALU_DEP_4)
	v_mad_co_u64_u32 v[26:27], null, s9, v34, v[5:6]
	v_add_co_u32 v6, s0, v18, v6
	s_wait_alu 0xf1ff
	v_add_co_ci_u32_e64 v7, s0, v19, v7, s0
	s_delay_alu instid0(VALU_DEP_4) | instskip(NEXT) | instid1(VALU_DEP_4)
	v_add_co_u32 v32, s0, v18, v32
	v_mad_co_u64_u32 v[34:35], null, s9, v35, v[25:26]
	v_dual_mov_b32 v5, v26 :: v_dual_add_nc_u32 v42, 0x49c, v184
	s_wait_alu 0xf1ff
	v_add_co_ci_u32_e64 v33, s0, v19, v33, s0
	s_delay_alu instid0(VALU_DEP_3) | instskip(NEXT) | instid1(VALU_DEP_3)
	v_mov_b32_e32 v25, v34
	v_mad_co_u64_u32 v[16:17], null, s8, v42, 0
	v_lshlrev_b64_e32 v[4:5], 4, v[4:5]
	s_delay_alu instid0(VALU_DEP_3) | instskip(NEXT) | instid1(VALU_DEP_3)
	v_lshlrev_b64_e32 v[24:25], 4, v[24:25]
	v_mad_co_u64_u32 v[26:27], null, s9, v42, v[17:18]
	v_mov_b32_e32 v17, v41
	s_delay_alu instid0(VALU_DEP_4) | instskip(SKIP_2) | instid1(VALU_DEP_3)
	v_add_co_u32 v4, s0, v18, v4
	s_wait_alu 0xf1ff
	v_add_co_ci_u32_e64 v5, s0, v19, v5, s0
	v_mad_co_u64_u32 v[34:35], null, s9, v43, v[17:18]
	v_mov_b32_e32 v17, v26
	v_add_co_u32 v24, s0, v18, v24
	s_wait_alu 0xf1ff
	v_add_co_ci_u32_e64 v25, s0, v19, v25, s0
	s_delay_alu instid0(VALU_DEP_3) | instskip(SKIP_1) | instid1(VALU_DEP_1)
	v_lshlrev_b64_e32 v[16:17], 4, v[16:17]
	v_mov_b32_e32 v41, v34
	v_lshlrev_b64_e32 v[26:27], 4, v[40:41]
	s_delay_alu instid0(VALU_DEP_3) | instskip(SKIP_1) | instid1(VALU_DEP_4)
	v_add_co_u32 v16, s0, v18, v16
	s_wait_alu 0xf1ff
	v_add_co_ci_u32_e64 v17, s0, v19, v17, s0
                                        ; implicit-def: $vgpr40_vgpr41
	s_delay_alu instid0(VALU_DEP_3)
	v_add_co_u32 v26, s0, v18, v26
	s_wait_alu 0xf1ff
	v_add_co_ci_u32_e64 v27, s0, v19, v27, s0
	s_clause 0x5
	global_load_b128 v[116:119], v[6:7], off
	global_load_b128 v[108:111], v[32:33], off
	;; [unrolled: 1-line block ×6, first 2 shown]
                                        ; implicit-def: $vgpr4_vgpr5
                                        ; implicit-def: $vgpr32_vgpr33
                                        ; implicit-def: $vgpr24_vgpr25
                                        ; implicit-def: $vgpr16_vgpr17
	v_cmpx_gt_u32_e32 15, v184
	s_cbranch_execz .LBB0_14
; %bb.13:
	v_add_nc_u32_e32 v26, 0xeb, v184
	v_add_nc_u32_e32 v40, 0x1e5, v184
	;; [unrolled: 1-line block ×5, first 2 shown]
	v_mad_co_u64_u32 v[6:7], null, s8, v26, 0
	v_mad_co_u64_u32 v[32:33], null, s8, v40, 0
	;; [unrolled: 1-line block ×3, first 2 shown]
	v_add_nc_u32_e32 v43, 0x2df, v184
	v_or_b32_e32 v132, 0x550, v184
	v_mad_co_u64_u32 v[26:27], null, s9, v26, v[7:8]
	s_delay_alu instid0(VALU_DEP_1) | instskip(NEXT) | instid1(VALU_DEP_1)
	v_dual_mov_b32 v7, v26 :: v_dual_add_nc_u32 v16, 0x6e, v184
	v_mad_co_u64_u32 v[4:5], null, s8, v16, 0
	v_mov_b32_e32 v26, v33
	s_delay_alu instid0(VALU_DEP_1) | instskip(NEXT) | instid1(VALU_DEP_3)
	v_mad_co_u64_u32 v[33:34], null, s9, v34, v[25:26]
	v_mad_co_u64_u32 v[16:17], null, s9, v16, v[5:6]
	v_lshlrev_b64_e32 v[6:7], 4, v[6:7]
	v_mad_co_u64_u32 v[26:27], null, s9, v40, v[26:27]
	v_mad_co_u64_u32 v[40:41], null, s8, v43, 0
	v_mov_b32_e32 v25, v33
	v_mov_b32_e32 v5, v16
	v_mad_co_u64_u32 v[16:17], null, s8, v42, 0
	v_mov_b32_e32 v33, v26
	s_delay_alu instid0(VALU_DEP_4) | instskip(NEXT) | instid1(VALU_DEP_4)
	v_lshlrev_b64_e32 v[24:25], 4, v[24:25]
	v_lshlrev_b64_e32 v[4:5], 4, v[4:5]
	v_mov_b32_e32 v26, v41
	s_delay_alu instid0(VALU_DEP_4) | instskip(NEXT) | instid1(VALU_DEP_3)
	v_lshlrev_b64_e32 v[32:33], 4, v[32:33]
	v_add_co_u32 v4, s0, v18, v4
	s_wait_alu 0xf1ff
	s_delay_alu instid0(VALU_DEP_4)
	v_add_co_ci_u32_e64 v5, s0, v19, v5, s0
	v_add_co_u32 v34, s0, v18, v6
	s_wait_alu 0xf1ff
	v_add_co_ci_u32_e64 v35, s0, v19, v7, s0
	s_clause 0x1
	global_load_b128 v[4:7], v[4:5], off
	global_load_b128 v[64:67], v[34:35], off
	v_mad_co_u64_u32 v[34:35], null, s9, v42, v[17:18]
	v_mad_co_u64_u32 v[26:27], null, s9, v43, v[26:27]
	v_add_nc_u32_e32 v27, 0x35c, v184
	v_add_co_u32 v24, s0, v18, v24
	s_wait_alu 0xf1ff
	v_add_co_ci_u32_e64 v25, s0, v19, v25, s0
	v_mov_b32_e32 v17, v34
	v_mad_co_u64_u32 v[34:35], null, s8, v27, 0
	v_add_co_u32 v32, s0, v18, v32
	v_mov_b32_e32 v41, v26
	s_wait_alu 0xf1ff
	v_add_co_ci_u32_e64 v33, s0, v19, v33, s0
	s_clause 0x1
	global_load_b128 v[56:59], v[24:25], off
	global_load_b128 v[48:51], v[32:33], off
	v_mov_b32_e32 v24, v35
	v_lshlrev_b64_e32 v[25:26], 4, v[40:41]
	v_lshlrev_b64_e32 v[16:17], 4, v[16:17]
	s_delay_alu instid0(VALU_DEP_2) | instskip(SKIP_1) | instid1(VALU_DEP_3)
	v_mad_co_u64_u32 v[32:33], null, s9, v27, v[24:25]
	v_add_nc_u32_e32 v40, 0x3d9, v184
	v_add_co_u32 v16, s0, v18, v16
	s_wait_alu 0xf1ff
	s_delay_alu instid0(VALU_DEP_4)
	v_add_co_ci_u32_e64 v17, s0, v19, v17, s0
	v_add_co_u32 v24, s0, v18, v25
	v_mov_b32_e32 v35, v32
	v_mad_co_u64_u32 v[52:53], null, s8, v40, 0
	v_add_nc_u32_e32 v41, 0x456, v184
	s_wait_alu 0xf1ff
	v_add_co_ci_u32_e64 v25, s0, v19, v26, s0
	v_mad_co_u64_u32 v[32:33], null, s8, v63, 0
	s_delay_alu instid0(VALU_DEP_4) | instskip(SKIP_1) | instid1(VALU_DEP_1)
	v_mov_b32_e32 v26, v53
	v_mad_co_u64_u32 v[54:55], null, s8, v41, 0
	v_mov_b32_e32 v27, v55
	s_delay_alu instid0(VALU_DEP_1)
	v_mad_co_u64_u32 v[60:61], null, s9, v40, v[26:27]
	v_mad_co_u64_u32 v[61:62], null, s8, v132, 0
	v_mad_co_u64_u32 v[26:27], null, s9, v41, v[27:28]
	s_clause 0x1
	global_load_b128 v[72:75], v[16:17], off
	global_load_b128 v[40:43], v[24:25], off
	v_dual_mov_b32 v16, v33 :: v_dual_mov_b32 v53, v60
	v_lshlrev_b64_e32 v[24:25], 4, v[34:35]
	s_delay_alu instid0(VALU_DEP_2) | instskip(SKIP_4) | instid1(VALU_DEP_4)
	v_mad_co_u64_u32 v[16:17], null, s9, v63, v[16:17]
	v_mov_b32_e32 v17, v62
	v_mov_b32_e32 v55, v26
	v_lshlrev_b64_e32 v[26:27], 4, v[52:53]
	v_add_co_u32 v24, s0, v18, v24
	v_mad_co_u64_u32 v[34:35], null, s9, v132, v[17:18]
	v_mov_b32_e32 v33, v16
	s_wait_alu 0xf1ff
	v_add_co_ci_u32_e64 v25, s0, v19, v25, s0
	v_lshlrev_b64_e32 v[52:53], 4, v[54:55]
	v_add_co_u32 v16, s0, v18, v26
	v_mov_b32_e32 v62, v34
	s_wait_alu 0xf1ff
	v_add_co_ci_u32_e64 v17, s0, v19, v27, s0
	v_lshlrev_b64_e32 v[26:27], 4, v[32:33]
	v_add_co_u32 v32, s0, v18, v52
	v_lshlrev_b64_e32 v[34:35], 4, v[61:62]
	s_wait_alu 0xf1ff
	v_add_co_ci_u32_e64 v33, s0, v19, v53, s0
	s_delay_alu instid0(VALU_DEP_4)
	v_add_co_u32 v26, s0, v18, v26
	s_wait_alu 0xf1ff
	v_add_co_ci_u32_e64 v27, s0, v19, v27, s0
	v_add_co_u32 v18, s0, v18, v34
	s_wait_alu 0xf1ff
	v_add_co_ci_u32_e64 v19, s0, v19, v35, s0
	s_clause 0x4
	global_load_b128 v[52:55], v[24:25], off
	global_load_b128 v[60:63], v[16:17], off
	;; [unrolled: 1-line block ×5, first 2 shown]
.LBB0_14:
	s_wait_alu 0xfffe
	s_or_b32 exec_lo, exec_lo, s2
	v_mov_b32_e32 v186, v185
.LBB0_15:
	s_or_b32 exec_lo, exec_lo, s1
	s_wait_loadcnt 0xb
	v_add_f64_e32 v[133:134], v[12:13], v[92:93]
	s_mov_b32 s6, 0x7f775887
	s_mov_b32 s7, 0xbfe4f49e
	v_add_f64_e64 v[135:136], v[94:95], -v[14:15]
	v_add_f64_e32 v[141:142], v[8:9], v[104:105]
	s_mov_b32 s2, 0x640f44db
	s_mov_b32 s0, 0xbb3a28a1
	;; [unrolled: 1-line block ×5, first 2 shown]
	s_wait_alu 0xfffe
	s_mov_b32 s22, s0
	v_add_f64_e64 v[143:144], v[106:107], -v[10:11]
	s_mov_b32 s18, 0x43842ef
	s_mov_b32 s19, 0x3fefac9e
	;; [unrolled: 1-line block ×15, first 2 shown]
	s_wait_alu 0xfffe
	s_mov_b32 s26, s24
	s_mov_b32 s20, 0xd9c712b6
	;; [unrolled: 1-line block ×7, first 2 shown]
	v_mad_u32_u24 v132, 0x58, v184, 0
	s_wait_loadcnt 0x4
	v_add_f64_e64 v[189:190], v[118:119], -v[110:111]
	v_mul_f64_e32 v[137:138], s[6:7], v[133:134]
	v_mul_f64_e32 v[145:146], s[2:3], v[141:142]
	;; [unrolled: 1-line block ×3, first 2 shown]
	s_delay_alu instid0(VALU_DEP_3) | instskip(SKIP_1) | instid1(VALU_DEP_4)
	v_fma_f64 v[139:140], v[135:136], s[0:1], v[137:138]
	v_fma_f64 v[137:138], v[135:136], s[22:23], v[137:138]
	v_fma_f64 v[147:148], v[143:144], s[14:15], v[145:146]
	v_fma_f64 v[145:146], v[143:144], s[18:19], v[145:146]
	s_wait_alu 0xfffe
	v_fma_f64 v[151:152], v[143:144], s[26:27], v[149:150]
	v_fma_f64 v[149:150], v[143:144], s[24:25], v[149:150]
	v_add_f64_e32 v[139:140], v[0:1], v[139:140]
	v_add_f64_e32 v[137:138], v[0:1], v[137:138]
	s_delay_alu instid0(VALU_DEP_2) | instskip(NEXT) | instid1(VALU_DEP_2)
	v_add_f64_e32 v[139:140], v[147:148], v[139:140]
	v_add_f64_e32 v[137:138], v[145:146], v[137:138]
	v_mul_f64_e32 v[145:146], s[16:17], v[133:134]
	s_delay_alu instid0(VALU_DEP_1) | instskip(SKIP_1) | instid1(VALU_DEP_2)
	v_fma_f64 v[147:148], v[135:136], s[30:31], v[145:146]
	v_fma_f64 v[145:146], v[135:136], s[28:29], v[145:146]
	v_add_f64_e32 v[147:148], v[0:1], v[147:148]
	s_delay_alu instid0(VALU_DEP_2) | instskip(NEXT) | instid1(VALU_DEP_2)
	v_add_f64_e32 v[145:146], v[0:1], v[145:146]
	v_add_f64_e32 v[147:148], v[151:152], v[147:148]
	s_delay_alu instid0(VALU_DEP_2) | instskip(SKIP_2) | instid1(VALU_DEP_2)
	v_add_f64_e32 v[145:146], v[149:150], v[145:146]
	v_add_f64_e32 v[149:150], v[20:21], v[80:81]
	v_add_f64_e64 v[151:152], v[82:83], -v[22:23]
	v_mul_f64_e32 v[153:154], s[12:13], v[149:150]
	s_delay_alu instid0(VALU_DEP_1) | instskip(SKIP_1) | instid1(VALU_DEP_2)
	v_fma_f64 v[155:156], v[151:152], s[24:25], v[153:154]
	v_fma_f64 v[153:154], v[151:152], s[26:27], v[153:154]
	v_add_f64_e32 v[139:140], v[155:156], v[139:140]
	s_delay_alu instid0(VALU_DEP_2) | instskip(SKIP_1) | instid1(VALU_DEP_1)
	v_add_f64_e32 v[137:138], v[153:154], v[137:138]
	v_mul_f64_e32 v[153:154], s[6:7], v[149:150]
	v_fma_f64 v[155:156], v[151:152], s[0:1], v[153:154]
	v_fma_f64 v[153:154], v[151:152], s[22:23], v[153:154]
	s_delay_alu instid0(VALU_DEP_2) | instskip(NEXT) | instid1(VALU_DEP_2)
	v_add_f64_e32 v[147:148], v[155:156], v[147:148]
	v_add_f64_e32 v[145:146], v[153:154], v[145:146]
	;; [unrolled: 1-line block ×3, first 2 shown]
	v_add_f64_e64 v[155:156], v[70:71], -v[30:31]
	s_delay_alu instid0(VALU_DEP_2) | instskip(NEXT) | instid1(VALU_DEP_1)
	v_mul_f64_e32 v[157:158], s[16:17], v[153:154]
	v_fma_f64 v[159:160], v[155:156], s[30:31], v[157:158]
	v_fma_f64 v[157:158], v[155:156], s[28:29], v[157:158]
	s_delay_alu instid0(VALU_DEP_2) | instskip(NEXT) | instid1(VALU_DEP_2)
	v_add_f64_e32 v[139:140], v[159:160], v[139:140]
	v_add_f64_e32 v[137:138], v[157:158], v[137:138]
	v_mul_f64_e32 v[157:158], s[20:21], v[153:154]
	s_delay_alu instid0(VALU_DEP_1) | instskip(SKIP_1) | instid1(VALU_DEP_2)
	v_fma_f64 v[159:160], v[155:156], s[36:37], v[157:158]
	v_fma_f64 v[157:158], v[155:156], s[34:35], v[157:158]
	v_add_f64_e32 v[147:148], v[159:160], v[147:148]
	s_delay_alu instid0(VALU_DEP_2) | instskip(SKIP_2) | instid1(VALU_DEP_2)
	v_add_f64_e32 v[145:146], v[157:158], v[145:146]
	v_add_f64_e32 v[157:158], v[44:45], v[36:37]
	v_add_f64_e64 v[159:160], v[38:39], -v[46:47]
	v_mul_f64_e32 v[161:162], s[20:21], v[157:158]
	s_delay_alu instid0(VALU_DEP_1) | instskip(SKIP_1) | instid1(VALU_DEP_2)
	v_fma_f64 v[163:164], v[159:160], s[36:37], v[161:162]
	v_fma_f64 v[161:162], v[159:160], s[34:35], v[161:162]
	v_add_f64_e32 v[139:140], v[163:164], v[139:140]
	s_delay_alu instid0(VALU_DEP_2) | instskip(SKIP_1) | instid1(VALU_DEP_1)
	v_add_f64_e32 v[137:138], v[161:162], v[137:138]
	v_mul_f64_e32 v[161:162], s[2:3], v[157:158]
	v_fma_f64 v[163:164], v[159:160], s[18:19], v[161:162]
	v_fma_f64 v[161:162], v[159:160], s[14:15], v[161:162]
	s_delay_alu instid0(VALU_DEP_2) | instskip(NEXT) | instid1(VALU_DEP_2)
	v_add_f64_e32 v[147:148], v[163:164], v[147:148]
	v_add_f64_e32 v[145:146], v[161:162], v[145:146]
	v_mul_f64_e32 v[163:164], s[6:7], v[141:142]
	ds_store_2addr_b64 v132, v[139:140], v[147:148] offset0:4 offset1:5
	ds_store_2addr_b64 v132, v[145:146], v[137:138] offset0:6 offset1:7
	v_mul_f64_e32 v[137:138], s[12:13], v[133:134]
	v_mul_f64_e32 v[145:146], s[20:21], v[141:142]
	v_fma_f64 v[165:166], v[143:144], s[0:1], v[163:164]
	v_mul_f64_e32 v[141:142], s[16:17], v[141:142]
	s_delay_alu instid0(VALU_DEP_4) | instskip(NEXT) | instid1(VALU_DEP_4)
	v_fma_f64 v[139:140], v[135:136], s[24:25], v[137:138]
	v_fma_f64 v[147:148], v[143:144], s[34:35], v[145:146]
	;; [unrolled: 1-line block ×3, first 2 shown]
	s_delay_alu instid0(VALU_DEP_4) | instskip(SKIP_2) | instid1(VALU_DEP_1)
	v_fma_f64 v[167:168], v[143:144], s[28:29], v[141:142]
	v_fma_f64 v[141:142], v[143:144], s[30:31], v[141:142]
	v_add_f64_e32 v[139:140], v[0:1], v[139:140]
	v_add_f64_e32 v[139:140], v[147:148], v[139:140]
	v_mul_f64_e32 v[147:148], s[20:21], v[133:134]
	v_mul_f64_e32 v[133:134], s[2:3], v[133:134]
	s_delay_alu instid0(VALU_DEP_2) | instskip(NEXT) | instid1(VALU_DEP_1)
	v_fma_f64 v[161:162], v[135:136], s[34:35], v[147:148]
	v_add_f64_e32 v[161:162], v[0:1], v[161:162]
	s_delay_alu instid0(VALU_DEP_1) | instskip(NEXT) | instid1(VALU_DEP_4)
	v_add_f64_e32 v[161:162], v[165:166], v[161:162]
	v_fma_f64 v[165:166], v[135:136], s[18:19], v[133:134]
	v_fma_f64 v[133:134], v[135:136], s[14:15], v[133:134]
	s_delay_alu instid0(VALU_DEP_2) | instskip(NEXT) | instid1(VALU_DEP_2)
	v_add_f64_e32 v[165:166], v[0:1], v[165:166]
	v_add_f64_e32 v[133:134], v[0:1], v[133:134]
	s_delay_alu instid0(VALU_DEP_2) | instskip(SKIP_1) | instid1(VALU_DEP_3)
	v_add_f64_e32 v[165:166], v[167:168], v[165:166]
	v_mul_f64_e32 v[167:168], s[2:3], v[149:150]
	v_add_f64_e32 v[133:134], v[141:142], v[133:134]
	s_delay_alu instid0(VALU_DEP_2) | instskip(NEXT) | instid1(VALU_DEP_1)
	v_fma_f64 v[169:170], v[151:152], s[18:19], v[167:168]
	v_add_f64_e32 v[139:140], v[169:170], v[139:140]
	v_mul_f64_e32 v[169:170], s[16:17], v[149:150]
	v_mul_f64_e32 v[149:150], s[20:21], v[149:150]
	s_delay_alu instid0(VALU_DEP_2) | instskip(NEXT) | instid1(VALU_DEP_1)
	v_fma_f64 v[171:172], v[151:152], s[28:29], v[169:170]
	v_add_f64_e32 v[161:162], v[171:172], v[161:162]
	s_delay_alu instid0(VALU_DEP_3) | instskip(SKIP_1) | instid1(VALU_DEP_2)
	v_fma_f64 v[171:172], v[151:152], s[36:37], v[149:150]
	v_fma_f64 v[149:150], v[151:152], s[34:35], v[149:150]
	v_add_f64_e32 v[165:166], v[171:172], v[165:166]
	v_mul_f64_e32 v[171:172], s[6:7], v[153:154]
	s_delay_alu instid0(VALU_DEP_3) | instskip(NEXT) | instid1(VALU_DEP_2)
	v_add_f64_e32 v[133:134], v[149:150], v[133:134]
	v_fma_f64 v[173:174], v[155:156], s[0:1], v[171:172]
	v_fma_f64 v[141:142], v[155:156], s[22:23], v[171:172]
	s_wait_loadcnt 0x3
	v_add_f64_e64 v[171:172], v[114:115], -v[102:103]
	s_delay_alu instid0(VALU_DEP_3) | instskip(SKIP_2) | instid1(VALU_DEP_2)
	v_add_f64_e32 v[139:140], v[173:174], v[139:140]
	v_mul_f64_e32 v[173:174], s[2:3], v[153:154]
	v_mul_f64_e32 v[153:154], s[12:13], v[153:154]
	v_fma_f64 v[178:179], v[155:156], s[14:15], v[173:174]
	s_delay_alu instid0(VALU_DEP_1) | instskip(NEXT) | instid1(VALU_DEP_3)
	v_add_f64_e32 v[161:162], v[178:179], v[161:162]
	v_fma_f64 v[178:179], v[155:156], s[24:25], v[153:154]
	s_delay_alu instid0(VALU_DEP_1) | instskip(SKIP_1) | instid1(VALU_DEP_1)
	v_add_f64_e32 v[165:166], v[178:179], v[165:166]
	v_mul_f64_e32 v[178:179], s[16:17], v[157:158]
	v_fma_f64 v[180:181], v[159:160], s[30:31], v[178:179]
	s_delay_alu instid0(VALU_DEP_1) | instskip(SKIP_2) | instid1(VALU_DEP_2)
	v_add_f64_e32 v[139:140], v[180:181], v[139:140]
	v_mul_f64_e32 v[180:181], s[12:13], v[157:158]
	v_mul_f64_e32 v[157:158], s[6:7], v[157:158]
	v_fma_f64 v[182:183], v[159:160], s[26:27], v[180:181]
	s_delay_alu instid0(VALU_DEP_1) | instskip(NEXT) | instid1(VALU_DEP_3)
	v_add_f64_e32 v[161:162], v[182:183], v[161:162]
	v_fma_f64 v[182:183], v[159:160], s[0:1], v[157:158]
	s_delay_alu instid0(VALU_DEP_1) | instskip(SKIP_1) | instid1(VALU_DEP_1)
	v_add_f64_e32 v[165:166], v[182:183], v[165:166]
	v_add_f64_e32 v[182:183], v[92:93], v[0:1]
	;; [unrolled: 1-line block ×3, first 2 shown]
	s_delay_alu instid0(VALU_DEP_1) | instskip(NEXT) | instid1(VALU_DEP_1)
	v_add_f64_e32 v[182:183], v[80:81], v[182:183]
	v_add_f64_e32 v[182:183], v[68:69], v[182:183]
	s_delay_alu instid0(VALU_DEP_1) | instskip(NEXT) | instid1(VALU_DEP_1)
	v_add_f64_e32 v[182:183], v[36:37], v[182:183]
	v_add_f64_e32 v[182:183], v[44:45], v[182:183]
	;; [unrolled: 3-line block ×4, first 2 shown]
	ds_store_2addr_b64 v132, v[161:162], v[165:166] offset0:2 offset1:3
	ds_store_2addr_b64 v132, v[182:183], v[139:140] offset1:1
	v_fma_f64 v[139:140], v[135:136], s[36:37], v[147:148]
	v_fma_f64 v[135:136], v[143:144], s[36:37], v[145:146]
	v_fma_f64 v[145:146], v[143:144], s[22:23], v[163:164]
	v_fma_f64 v[147:148], v[151:152], s[30:31], v[169:170]
	v_fma_f64 v[143:144], v[151:152], s[14:15], v[167:168]
	s_wait_loadcnt 0x2
	v_add_f64_e64 v[161:162], v[122:123], -v[98:99]
	v_add_f64_e32 v[139:140], v[0:1], v[139:140]
	v_add_f64_e32 v[0:1], v[0:1], v[137:138]
	v_fma_f64 v[137:138], v[155:156], s[18:19], v[173:174]
	s_delay_alu instid0(VALU_DEP_3) | instskip(NEXT) | instid1(VALU_DEP_3)
	v_add_f64_e32 v[139:140], v[145:146], v[139:140]
	v_add_f64_e32 v[0:1], v[135:136], v[0:1]
	s_delay_alu instid0(VALU_DEP_2) | instskip(SKIP_1) | instid1(VALU_DEP_3)
	v_add_f64_e32 v[135:136], v[147:148], v[139:140]
	v_fma_f64 v[139:140], v[155:156], s[26:27], v[153:154]
	v_add_f64_e32 v[0:1], v[143:144], v[0:1]
	v_fma_f64 v[143:144], v[159:160], s[28:29], v[178:179]
	s_delay_alu instid0(VALU_DEP_4) | instskip(NEXT) | instid1(VALU_DEP_4)
	v_add_f64_e32 v[135:136], v[137:138], v[135:136]
	v_add_f64_e32 v[133:134], v[139:140], v[133:134]
	v_fma_f64 v[137:138], v[159:160], s[24:25], v[180:181]
	v_fma_f64 v[139:140], v[159:160], s[22:23], v[157:158]
	v_add_f64_e32 v[0:1], v[141:142], v[0:1]
	s_wait_loadcnt 0x1
	v_add_f64_e32 v[141:142], v[88:89], v[124:125]
	s_delay_alu instid0(VALU_DEP_4) | instskip(NEXT) | instid1(VALU_DEP_4)
	v_add_f64_e32 v[135:136], v[137:138], v[135:136]
	v_add_f64_e32 v[133:134], v[139:140], v[133:134]
	s_delay_alu instid0(VALU_DEP_4)
	v_add_f64_e32 v[0:1], v[143:144], v[0:1]
	v_add_f64_e64 v[143:144], v[126:127], -v[90:91]
	v_mul_f64_e32 v[145:146], s[20:21], v[141:142]
	v_mul_f64_e32 v[151:152], s[6:7], v[141:142]
	;; [unrolled: 1-line block ×3, first 2 shown]
	ds_store_2addr_b64 v132, v[133:134], v[135:136] offset0:8 offset1:9
	ds_store_b64 v132, v[0:1] offset:80
	s_wait_loadcnt 0x0
	v_add_f64_e32 v[133:134], v[84:85], v[128:129]
	v_add_f64_e64 v[135:136], v[130:131], -v[86:87]
	v_fma_f64 v[147:148], v[143:144], s[34:35], v[145:146]
	v_fma_f64 v[153:154], v[143:144], s[0:1], v[151:152]
	v_fma_f64 v[159:160], v[143:144], s[28:29], v[157:158]
	v_add_f64_e32 v[0:1], v[128:129], v[76:77]
	v_mul_f64_e32 v[137:138], s[12:13], v[133:134]
	s_delay_alu instid0(VALU_DEP_2) | instskip(NEXT) | instid1(VALU_DEP_2)
	v_add_f64_e32 v[0:1], v[124:125], v[0:1]
	v_fma_f64 v[139:140], v[135:136], s[24:25], v[137:138]
	s_delay_alu instid0(VALU_DEP_2) | instskip(NEXT) | instid1(VALU_DEP_2)
	v_add_f64_e32 v[0:1], v[120:121], v[0:1]
	v_add_f64_e32 v[139:140], v[76:77], v[139:140]
	s_delay_alu instid0(VALU_DEP_2) | instskip(NEXT) | instid1(VALU_DEP_2)
	v_add_f64_e32 v[0:1], v[112:113], v[0:1]
	v_add_f64_e32 v[139:140], v[147:148], v[139:140]
	v_mul_f64_e32 v[147:148], s[20:21], v[133:134]
	s_delay_alu instid0(VALU_DEP_3) | instskip(NEXT) | instid1(VALU_DEP_2)
	v_add_f64_e32 v[0:1], v[116:117], v[0:1]
	v_fma_f64 v[149:150], v[135:136], s[34:35], v[147:148]
	s_delay_alu instid0(VALU_DEP_2) | instskip(NEXT) | instid1(VALU_DEP_2)
	v_add_f64_e32 v[0:1], v[108:109], v[0:1]
	v_add_f64_e32 v[149:150], v[76:77], v[149:150]
	s_delay_alu instid0(VALU_DEP_2) | instskip(NEXT) | instid1(VALU_DEP_2)
	v_add_f64_e32 v[0:1], v[100:101], v[0:1]
	v_add_f64_e32 v[149:150], v[153:154], v[149:150]
	v_mul_f64_e32 v[153:154], s[2:3], v[133:134]
	s_delay_alu instid0(VALU_DEP_3) | instskip(NEXT) | instid1(VALU_DEP_2)
	v_add_f64_e32 v[0:1], v[96:97], v[0:1]
	v_fma_f64 v[155:156], v[135:136], s[18:19], v[153:154]
	s_delay_alu instid0(VALU_DEP_2) | instskip(NEXT) | instid1(VALU_DEP_2)
	v_add_f64_e32 v[0:1], v[88:89], v[0:1]
	v_add_f64_e32 v[155:156], v[76:77], v[155:156]
	s_delay_alu instid0(VALU_DEP_2) | instskip(NEXT) | instid1(VALU_DEP_2)
	v_add_f64_e32 v[0:1], v[84:85], v[0:1]
	v_add_f64_e32 v[155:156], v[159:160], v[155:156]
	;; [unrolled: 1-line block ×3, first 2 shown]
	s_delay_alu instid0(VALU_DEP_1) | instskip(NEXT) | instid1(VALU_DEP_1)
	v_mul_f64_e32 v[163:164], s[2:3], v[159:160]
	v_fma_f64 v[165:166], v[161:162], s[18:19], v[163:164]
	s_delay_alu instid0(VALU_DEP_1) | instskip(SKIP_1) | instid1(VALU_DEP_1)
	v_add_f64_e32 v[139:140], v[165:166], v[139:140]
	v_mul_f64_e32 v[165:166], s[16:17], v[159:160]
	v_fma_f64 v[167:168], v[161:162], s[28:29], v[165:166]
	s_delay_alu instid0(VALU_DEP_1) | instskip(SKIP_1) | instid1(VALU_DEP_1)
	v_add_f64_e32 v[149:150], v[167:168], v[149:150]
	v_mul_f64_e32 v[167:168], s[20:21], v[159:160]
	v_fma_f64 v[169:170], v[161:162], s[36:37], v[167:168]
	s_delay_alu instid0(VALU_DEP_1) | instskip(SKIP_1) | instid1(VALU_DEP_1)
	v_add_f64_e32 v[155:156], v[169:170], v[155:156]
	v_add_f64_e32 v[169:170], v[100:101], v[112:113]
	v_mul_f64_e32 v[173:174], s[6:7], v[169:170]
	s_delay_alu instid0(VALU_DEP_1) | instskip(NEXT) | instid1(VALU_DEP_1)
	v_fma_f64 v[178:179], v[171:172], s[0:1], v[173:174]
	v_add_f64_e32 v[139:140], v[178:179], v[139:140]
	v_mul_f64_e32 v[179:180], s[2:3], v[169:170]
	v_mad_i32_i24 v178, 0x58, v186, 0
	s_delay_alu instid0(VALU_DEP_2) | instskip(NEXT) | instid1(VALU_DEP_1)
	v_fma_f64 v[181:182], v[171:172], s[14:15], v[179:180]
	v_add_f64_e32 v[149:150], v[181:182], v[149:150]
	v_mul_f64_e32 v[181:182], s[12:13], v[169:170]
	s_delay_alu instid0(VALU_DEP_1) | instskip(NEXT) | instid1(VALU_DEP_1)
	v_fma_f64 v[187:188], v[171:172], s[24:25], v[181:182]
	v_add_f64_e32 v[155:156], v[187:188], v[155:156]
	v_add_f64_e32 v[187:188], v[108:109], v[116:117]
	s_delay_alu instid0(VALU_DEP_1) | instskip(NEXT) | instid1(VALU_DEP_1)
	v_mul_f64_e32 v[191:192], s[16:17], v[187:188]
	v_fma_f64 v[193:194], v[189:190], s[30:31], v[191:192]
	s_delay_alu instid0(VALU_DEP_1) | instskip(SKIP_1) | instid1(VALU_DEP_1)
	v_add_f64_e32 v[139:140], v[193:194], v[139:140]
	v_mul_f64_e32 v[193:194], s[12:13], v[187:188]
	v_fma_f64 v[195:196], v[189:190], s[26:27], v[193:194]
	s_delay_alu instid0(VALU_DEP_1) | instskip(SKIP_1) | instid1(VALU_DEP_1)
	v_add_f64_e32 v[149:150], v[195:196], v[149:150]
	v_mul_f64_e32 v[195:196], s[6:7], v[187:188]
	v_fma_f64 v[197:198], v[189:190], s[0:1], v[195:196]
	s_delay_alu instid0(VALU_DEP_1)
	v_add_f64_e32 v[155:156], v[197:198], v[155:156]
	ds_store_2addr_b64 v178, v[0:1], v[139:140] offset1:1
	ds_store_2addr_b64 v178, v[149:150], v[155:156] offset0:2 offset1:3
	v_mul_f64_e32 v[0:1], s[6:7], v[133:134]
	v_mul_f64_e32 v[149:150], s[2:3], v[141:142]
	;; [unrolled: 1-line block ×4, first 2 shown]
	s_delay_alu instid0(VALU_DEP_4) | instskip(SKIP_3) | instid1(VALU_DEP_4)
	v_fma_f64 v[139:140], v[135:136], s[0:1], v[0:1]
	v_fma_f64 v[0:1], v[135:136], s[22:23], v[0:1]
	;; [unrolled: 1-line block ×4, first 2 shown]
	v_add_f64_e32 v[139:140], v[76:77], v[139:140]
	s_delay_alu instid0(VALU_DEP_4) | instskip(NEXT) | instid1(VALU_DEP_2)
	v_add_f64_e32 v[0:1], v[76:77], v[0:1]
	v_add_f64_e32 v[139:140], v[155:156], v[139:140]
	s_delay_alu instid0(VALU_DEP_2) | instskip(SKIP_4) | instid1(VALU_DEP_4)
	v_add_f64_e32 v[0:1], v[149:150], v[0:1]
	v_fma_f64 v[149:150], v[135:136], s[30:31], v[133:134]
	v_fma_f64 v[133:134], v[135:136], s[28:29], v[133:134]
	;; [unrolled: 1-line block ×4, first 2 shown]
	v_add_f64_e32 v[149:150], v[76:77], v[149:150]
	s_delay_alu instid0(VALU_DEP_4) | instskip(NEXT) | instid1(VALU_DEP_2)
	v_add_f64_e32 v[133:134], v[76:77], v[133:134]
	v_add_f64_e32 v[149:150], v[155:156], v[149:150]
	s_delay_alu instid0(VALU_DEP_2) | instskip(SKIP_1) | instid1(VALU_DEP_1)
	v_add_f64_e32 v[133:134], v[141:142], v[133:134]
	v_mul_f64_e32 v[141:142], s[12:13], v[159:160]
	v_fma_f64 v[155:156], v[161:162], s[24:25], v[141:142]
	v_fma_f64 v[141:142], v[161:162], s[26:27], v[141:142]
	s_delay_alu instid0(VALU_DEP_2) | instskip(NEXT) | instid1(VALU_DEP_2)
	v_add_f64_e32 v[139:140], v[155:156], v[139:140]
	v_add_f64_e32 v[0:1], v[141:142], v[0:1]
	v_mul_f64_e32 v[141:142], s[6:7], v[159:160]
	s_delay_alu instid0(VALU_DEP_1) | instskip(SKIP_2) | instid1(VALU_DEP_3)
	v_fma_f64 v[155:156], v[161:162], s[0:1], v[141:142]
	v_fma_f64 v[141:142], v[161:162], s[22:23], v[141:142]
	v_cmp_gt_u32_e64 s0, 15, v184
	v_add_f64_e32 v[149:150], v[155:156], v[149:150]
	s_delay_alu instid0(VALU_DEP_3) | instskip(SKIP_1) | instid1(VALU_DEP_1)
	v_add_f64_e32 v[133:134], v[141:142], v[133:134]
	v_mul_f64_e32 v[141:142], s[16:17], v[169:170]
	v_fma_f64 v[155:156], v[171:172], s[30:31], v[141:142]
	v_fma_f64 v[141:142], v[171:172], s[28:29], v[141:142]
	s_delay_alu instid0(VALU_DEP_2) | instskip(NEXT) | instid1(VALU_DEP_2)
	v_add_f64_e32 v[139:140], v[155:156], v[139:140]
	v_add_f64_e32 v[0:1], v[141:142], v[0:1]
	v_mul_f64_e32 v[141:142], s[20:21], v[169:170]
	s_delay_alu instid0(VALU_DEP_1) | instskip(SKIP_1) | instid1(VALU_DEP_2)
	v_fma_f64 v[155:156], v[171:172], s[36:37], v[141:142]
	v_fma_f64 v[141:142], v[171:172], s[34:35], v[141:142]
	v_add_f64_e32 v[149:150], v[155:156], v[149:150]
	s_delay_alu instid0(VALU_DEP_2) | instskip(SKIP_1) | instid1(VALU_DEP_1)
	v_add_f64_e32 v[133:134], v[141:142], v[133:134]
	v_mul_f64_e32 v[141:142], s[20:21], v[187:188]
	v_fma_f64 v[155:156], v[189:190], s[36:37], v[141:142]
	v_fma_f64 v[141:142], v[189:190], s[34:35], v[141:142]
	s_delay_alu instid0(VALU_DEP_2) | instskip(NEXT) | instid1(VALU_DEP_2)
	v_add_f64_e32 v[139:140], v[155:156], v[139:140]
	v_add_f64_e32 v[0:1], v[141:142], v[0:1]
	v_mul_f64_e32 v[141:142], s[2:3], v[187:188]
	s_delay_alu instid0(VALU_DEP_1) | instskip(SKIP_1) | instid1(VALU_DEP_2)
	v_fma_f64 v[155:156], v[189:190], s[18:19], v[141:142]
	v_fma_f64 v[141:142], v[189:190], s[14:15], v[141:142]
	v_add_f64_e32 v[149:150], v[155:156], v[149:150]
	s_delay_alu instid0(VALU_DEP_2)
	v_add_f64_e32 v[133:134], v[141:142], v[133:134]
	ds_store_2addr_b64 v178, v[139:140], v[149:150] offset0:4 offset1:5
	ds_store_2addr_b64 v178, v[133:134], v[0:1] offset0:6 offset1:7
	v_fma_f64 v[0:1], v[135:136], s[36:37], v[147:148]
	v_fma_f64 v[133:134], v[135:136], s[26:27], v[137:138]
	;; [unrolled: 1-line block ×9, first 2 shown]
	v_add_f64_e32 v[0:1], v[76:77], v[0:1]
	v_add_f64_e32 v[135:136], v[76:77], v[135:136]
	;; [unrolled: 1-line block ×3, first 2 shown]
	v_fma_f64 v[133:134], v[171:172], s[22:23], v[173:174]
	s_delay_alu instid0(VALU_DEP_4)
	v_add_f64_e32 v[0:1], v[139:140], v[0:1]
	v_fma_f64 v[139:140], v[171:172], s[26:27], v[181:182]
	v_add_f64_e32 v[135:136], v[141:142], v[135:136]
	v_add_f64_e32 v[76:77], v[137:138], v[76:77]
	v_fma_f64 v[137:138], v[171:172], s[18:19], v[179:180]
	v_fma_f64 v[141:142], v[189:190], s[24:25], v[193:194]
	v_add_f64_e32 v[0:1], v[145:146], v[0:1]
	v_fma_f64 v[145:146], v[189:190], s[22:23], v[195:196]
	v_add_f64_e32 v[135:136], v[147:148], v[135:136]
	v_add_f64_e32 v[76:77], v[143:144], v[76:77]
	v_fma_f64 v[143:144], v[189:190], s[28:29], v[191:192]
	v_add_f64_e32 v[0:1], v[137:138], v[0:1]
	s_delay_alu instid0(VALU_DEP_4) | instskip(NEXT) | instid1(VALU_DEP_4)
	v_add_f64_e32 v[135:136], v[139:140], v[135:136]
	v_add_f64_e32 v[76:77], v[133:134], v[76:77]
	s_delay_alu instid0(VALU_DEP_3) | instskip(NEXT) | instid1(VALU_DEP_3)
	v_add_f64_e32 v[0:1], v[141:142], v[0:1]
	v_add_f64_e32 v[133:134], v[145:146], v[135:136]
	s_delay_alu instid0(VALU_DEP_3)
	v_add_f64_e32 v[76:77], v[143:144], v[76:77]
	ds_store_2addr_b64 v178, v[133:134], v[0:1] offset0:8 offset1:9
	ds_store_b64 v178, v[76:77] offset:80
	s_and_saveexec_b32 s1, s0
	s_cbranch_execz .LBB0_17
; %bb.16:
	v_add_f64_e32 v[0:1], v[64:65], v[4:5]
	v_add_f64_e64 v[76:77], v[66:67], -v[18:19]
	v_add_f64_e64 v[133:134], v[58:59], -v[26:27]
	v_add_f64_e32 v[135:136], v[16:17], v[64:65]
	v_add_f64_e64 v[145:146], v[50:51], -v[34:35]
	v_add_f64_e32 v[147:148], v[24:25], v[56:57]
	v_add_f64_e32 v[167:168], v[32:33], v[48:49]
	;; [unrolled: 1-line block ×3, first 2 shown]
	v_mul_f64_e32 v[137:138], s[28:29], v[76:77]
	v_mul_f64_e32 v[139:140], s[22:23], v[76:77]
	;; [unrolled: 1-line block ×15, first 2 shown]
	v_add_f64_e32 v[0:1], v[48:49], v[0:1]
	v_fma_f64 v[157:158], v[135:136], s[16:17], v[137:138]
	v_fma_f64 v[137:138], v[135:136], s[16:17], -v[137:138]
	v_fma_f64 v[159:160], v[135:136], s[6:7], v[139:140]
	v_fma_f64 v[139:140], v[135:136], s[6:7], -v[139:140]
	v_fma_f64 v[161:162], v[135:136], s[2:3], -v[141:142]
	;; [unrolled: 1-line block ×3, first 2 shown]
	v_fma_f64 v[141:142], v[135:136], s[2:3], v[141:142]
	v_fma_f64 v[143:144], v[135:136], s[20:21], v[143:144]
	v_fma_f64 v[165:166], v[135:136], s[12:13], -v[76:77]
	v_fma_f64 v[76:77], v[135:136], s[12:13], v[76:77]
	v_add_f64_e64 v[135:136], v[74:75], -v[62:63]
	v_fma_f64 v[181:182], v[147:148], s[12:13], v[149:150]
	v_fma_f64 v[149:150], v[147:148], s[12:13], -v[149:150]
	v_fma_f64 v[187:188], v[147:148], s[2:3], v[151:152]
	v_fma_f64 v[151:152], v[147:148], s[2:3], -v[151:152]
	;; [unrolled: 2-line block ×5, first 2 shown]
	v_fma_f64 v[203:204], v[167:168], s[6:7], v[169:170]
	v_fma_f64 v[205:206], v[167:168], s[12:13], v[171:172]
	;; [unrolled: 1-line block ×3, first 2 shown]
	v_fma_f64 v[173:174], v[167:168], s[20:21], -v[173:174]
	v_fma_f64 v[209:210], v[167:168], s[16:17], v[179:180]
	v_fma_f64 v[179:180], v[167:168], s[16:17], -v[179:180]
	v_fma_f64 v[169:170], v[167:168], s[6:7], -v[169:170]
	;; [unrolled: 1-line block ×3, first 2 shown]
	v_fma_f64 v[211:212], v[167:168], s[2:3], v[145:146]
	v_fma_f64 v[145:146], v[167:168], s[2:3], -v[145:146]
	v_add_f64_e32 v[0:1], v[72:73], v[0:1]
	v_add_f64_e32 v[147:148], v[4:5], v[157:158]
	;; [unrolled: 1-line block ×11, first 2 shown]
	v_add_f64_e64 v[76:77], v[42:43], -v[54:55]
	v_add_f64_e32 v[165:166], v[60:61], v[72:73]
	v_mul_f64_e32 v[195:196], s[34:35], v[135:136]
	v_mul_f64_e32 v[197:198], s[28:29], v[135:136]
	;; [unrolled: 1-line block ×5, first 2 shown]
	v_add_f64_e32 v[0:1], v[40:41], v[0:1]
	v_add_f64_e32 v[147:148], v[181:182], v[147:148]
	;; [unrolled: 1-line block ×12, first 2 shown]
	v_mul_f64_e32 v[157:158], s[14:15], v[76:77]
	v_mul_f64_e32 v[159:160], s[34:35], v[76:77]
	;; [unrolled: 1-line block ×4, first 2 shown]
	v_fma_f64 v[167:168], v[165:166], s[20:21], v[195:196]
	v_fma_f64 v[187:188], v[165:166], s[16:17], v[197:198]
	v_fma_f64 v[189:190], v[165:166], s[16:17], -v[197:198]
	v_fma_f64 v[193:194], v[165:166], s[12:13], -v[199:200]
	;; [unrolled: 1-line block ×4, first 2 shown]
	v_fma_f64 v[191:192], v[165:166], s[12:13], v[199:200]
	v_fma_f64 v[195:196], v[165:166], s[2:3], v[201:202]
	v_mul_f64_e32 v[76:77], s[28:29], v[76:77]
	v_fma_f64 v[199:200], v[165:166], s[6:7], v[135:136]
	v_fma_f64 v[135:136], v[165:166], s[6:7], -v[135:136]
	v_add_f64_e32 v[0:1], v[52:53], v[0:1]
	v_add_f64_e32 v[147:148], v[203:204], v[147:148]
	;; [unrolled: 1-line block ×11, first 2 shown]
	v_fma_f64 v[145:146], v[155:156], s[2:3], v[157:158]
	v_fma_f64 v[165:166], v[155:156], s[20:21], v[159:160]
	;; [unrolled: 1-line block ×3, first 2 shown]
	v_fma_f64 v[161:162], v[155:156], s[6:7], -v[161:162]
	v_fma_f64 v[171:172], v[155:156], s[12:13], v[163:164]
	v_fma_f64 v[163:164], v[155:156], s[12:13], -v[163:164]
	v_fma_f64 v[157:158], v[155:156], s[2:3], -v[157:158]
	;; [unrolled: 1-line block ×3, first 2 shown]
	v_fma_f64 v[173:174], v[155:156], s[16:17], v[76:77]
	v_fma_f64 v[76:77], v[155:156], s[16:17], -v[76:77]
	v_add_f64_e32 v[0:1], v[60:61], v[0:1]
	v_add_f64_e32 v[147:148], v[167:168], v[147:148]
	;; [unrolled: 1-line block ×22, first 2 shown]
	v_add_nc_u32_e32 v133, 0x25e0, v132
	v_add_nc_u32_e32 v134, 0x25f0, v132
	;; [unrolled: 1-line block ×5, first 2 shown]
	v_add_f64_e32 v[0:1], v[24:25], v[0:1]
	s_delay_alu instid0(VALU_DEP_1)
	v_add_f64_e32 v[0:1], v[16:17], v[0:1]
	ds_store_2addr_b64 v133, v[149:150], v[147:148] offset1:1
	ds_store_2addr_b64 v134, v[139:140], v[137:138] offset1:1
	;; [unrolled: 1-line block ×5, first 2 shown]
	ds_store_b64 v132, v[4:5] offset:9760
.LBB0_17:
	s_wait_alu 0xfffe
	s_or_b32 exec_lo, exec_lo, s1
	v_add_f64_e32 v[0:1], v[94:95], v[2:3]
	v_add_f64_e32 v[4:5], v[130:131], v[78:79]
	v_add_f64_e64 v[12:13], v[92:93], -v[12:13]
	v_add_f64_e64 v[84:85], v[128:129], -v[84:85]
	v_add_f64_e64 v[8:9], v[104:105], -v[8:9]
	v_add_f64_e64 v[36:37], v[36:37], -v[44:45]
	v_add_f64_e32 v[44:45], v[14:15], v[94:95]
	v_add_f64_e32 v[104:105], v[90:91], v[126:127]
	v_add_f64_e64 v[88:89], v[124:125], -v[88:89]
	v_add_f64_e64 v[108:109], v[116:117], -v[108:109]
	v_add_f64_e32 v[94:95], v[86:87], v[130:131]
	v_add_f64_e64 v[20:21], v[80:81], -v[20:21]
	v_add_f64_e64 v[28:29], v[68:69], -v[28:29]
	v_add_f64_e32 v[68:69], v[10:11], v[106:107]
	v_add_f64_e32 v[76:77], v[22:23], v[82:83]
	v_add_f64_e64 v[96:97], v[120:121], -v[96:97]
	v_add_f64_e32 v[92:93], v[46:47], v[38:39]
	v_add_f64_e64 v[100:101], v[112:113], -v[100:101]
	v_add_f64_e32 v[112:113], v[110:111], v[118:119]
	v_add_f64_e32 v[80:81], v[30:31], v[70:71]
	;; [unrolled: 1-line block ×3, first 2 shown]
	global_wb scope:SCOPE_SE
	s_wait_dscnt 0x0
	s_barrier_signal -1
	s_barrier_wait -1
	global_inv scope:SCOPE_SE
	v_add_f64_e32 v[0:1], v[106:107], v[0:1]
	v_add_f64_e32 v[4:5], v[126:127], v[4:5]
	v_mul_f64_e32 v[116:117], s[26:27], v[12:13]
	v_mul_f64_e32 v[124:125], s[36:37], v[12:13]
	;; [unrolled: 1-line block ×18, first 2 shown]
	v_add_f64_e32 v[106:107], v[98:99], v[122:123]
	v_mul_f64_e32 v[137:138], s[30:31], v[20:21]
	v_mul_f64_e32 v[139:140], s[34:35], v[20:21]
	v_mul_f64_e32 v[141:142], s[26:27], v[20:21]
	v_mul_f64_e32 v[179:180], s[14:15], v[96:97]
	v_mul_f64_e32 v[181:182], s[30:31], v[96:97]
	v_mul_f64_e32 v[187:188], s[34:35], v[96:97]
	v_mul_f64_e32 v[189:190], s[26:27], v[96:97]
	v_mul_f64_e32 v[96:97], s[22:23], v[96:97]
	v_mul_f64_e32 v[143:144], s[22:23], v[28:29]
	v_mul_f64_e32 v[145:146], s[18:19], v[28:29]
	v_mul_f64_e32 v[147:148], s[26:27], v[28:29]
	v_mul_f64_e32 v[149:150], s[28:29], v[28:29]
	v_mul_f64_e32 v[28:29], s[34:35], v[28:29]
	v_mul_f64_e32 v[151:152], s[28:29], v[36:37]
	v_mul_f64_e32 v[153:154], s[24:25], v[36:37]
	v_mul_f64_e32 v[191:192], s[22:23], v[100:101]
	v_mul_f64_e32 v[193:194], s[18:19], v[100:101]
	v_add_f64_e32 v[0:1], v[82:83], v[0:1]
	v_add_f64_e32 v[4:5], v[122:123], v[4:5]
	v_mul_f64_e32 v[82:83], s[18:19], v[8:9]
	v_mul_f64_e32 v[8:9], s[24:25], v[8:9]
	v_fma_f64 v[203:204], v[44:45], s[12:13], v[116:117]
	v_fma_f64 v[116:117], v[44:45], s[12:13], -v[116:117]
	v_fma_f64 v[205:206], v[44:45], s[20:21], v[124:125]
	v_fma_f64 v[124:125], v[44:45], s[20:21], -v[124:125]
	v_fma_f64 v[207:208], v[44:45], s[2:3], v[126:127]
	v_fma_f64 v[209:210], v[44:45], s[6:7], v[128:129]
	v_fma_f64 v[128:129], v[44:45], s[6:7], -v[128:129]
	v_fma_f64 v[211:212], v[44:45], s[16:17], v[12:13]
	v_fma_f64 v[126:127], v[44:45], s[2:3], -v[126:127]
	v_fma_f64 v[12:13], v[44:45], s[16:17], -v[12:13]
	v_fma_f64 v[225:226], v[94:95], s[12:13], v[159:160]
	v_fma_f64 v[227:228], v[94:95], s[20:21], v[161:162]
	;; [unrolled: 1-line block ×3, first 2 shown]
	v_fma_f64 v[161:162], v[94:95], s[20:21], -v[161:162]
	v_fma_f64 v[163:164], v[94:95], s[2:3], -v[163:164]
	v_mul_f64_e32 v[122:123], s[14:15], v[20:21]
	v_mul_f64_e32 v[20:21], s[22:23], v[20:21]
	v_fma_f64 v[44:45], v[68:69], s[20:21], v[130:131]
	v_fma_f64 v[130:131], v[68:69], s[20:21], -v[130:131]
	v_fma_f64 v[213:214], v[68:69], s[6:7], v[133:134]
	v_fma_f64 v[133:134], v[68:69], s[6:7], -v[133:134]
	v_fma_f64 v[215:216], v[68:69], s[16:17], v[135:136]
	v_fma_f64 v[233:234], v[104:105], s[20:21], v[167:168]
	v_fma_f64 v[167:168], v[104:105], s[20:21], -v[167:168]
	v_fma_f64 v[235:236], v[104:105], s[6:7], v[169:170]
	v_fma_f64 v[169:170], v[104:105], s[6:7], -v[169:170]
	;; [unrolled: 2-line block ×5, first 2 shown]
	v_fma_f64 v[135:136], v[68:69], s[16:17], -v[135:136]
	v_fma_f64 v[221:222], v[76:77], s[16:17], v[137:138]
	v_add_f64_e32 v[0:1], v[70:71], v[0:1]
	v_add_f64_e32 v[4:5], v[114:115], v[4:5]
	v_fma_f64 v[217:218], v[68:69], s[2:3], v[82:83]
	v_fma_f64 v[82:83], v[68:69], s[2:3], -v[82:83]
	v_fma_f64 v[219:220], v[68:69], s[12:13], v[8:9]
	v_add_f64_e32 v[104:105], v[2:3], v[203:204]
	v_add_f64_e32 v[116:117], v[2:3], v[116:117]
	;; [unrolled: 1-line block ×8, first 2 shown]
	v_fma_f64 v[8:9], v[68:69], s[12:13], -v[8:9]
	v_add_f64_e32 v[126:127], v[2:3], v[126:127]
	v_add_f64_e32 v[2:3], v[2:3], v[12:13]
	;; [unrolled: 1-line block ×6, first 2 shown]
	v_fma_f64 v[68:69], v[76:77], s[2:3], v[122:123]
	v_fma_f64 v[122:123], v[76:77], s[2:3], -v[122:123]
	v_fma_f64 v[137:138], v[76:77], s[16:17], -v[137:138]
	v_fma_f64 v[223:224], v[76:77], s[20:21], v[139:140]
	v_fma_f64 v[231:232], v[76:77], s[6:7], v[20:21]
	;; [unrolled: 1-line block ×3, first 2 shown]
	v_fma_f64 v[179:180], v[106:107], s[2:3], -v[179:180]
	v_fma_f64 v[229:230], v[106:107], s[16:17], v[181:182]
	v_fma_f64 v[181:182], v[106:107], s[16:17], -v[181:182]
	v_fma_f64 v[243:244], v[106:107], s[20:21], v[187:188]
	;; [unrolled: 2-line block ×4, first 2 shown]
	v_fma_f64 v[96:97], v[106:107], s[6:7], -v[96:97]
	v_mul_f64_e32 v[195:196], s[26:27], v[100:101]
	v_mul_f64_e32 v[197:198], s[28:29], v[100:101]
	;; [unrolled: 1-line block ×3, first 2 shown]
	v_add_f64_e32 v[0:1], v[38:39], v[0:1]
	v_add_f64_e32 v[4:5], v[118:119], v[4:5]
	v_fma_f64 v[38:39], v[94:95], s[6:7], v[165:166]
	v_fma_f64 v[118:119], v[94:95], s[6:7], -v[165:166]
	v_fma_f64 v[165:166], v[94:95], s[16:17], v[84:85]
	v_fma_f64 v[84:85], v[94:95], s[16:17], -v[84:85]
	v_fma_f64 v[94:95], v[94:95], s[12:13], -v[159:160]
	v_fma_f64 v[159:160], v[76:77], s[12:13], v[141:142]
	v_add_f64_e32 v[44:45], v[44:45], v[104:105]
	v_add_f64_e32 v[104:105], v[130:131], v[116:117]
	;; [unrolled: 1-line block ×8, first 2 shown]
	v_fma_f64 v[139:140], v[76:77], s[20:21], -v[139:140]
	v_fma_f64 v[141:142], v[76:77], s[12:13], -v[141:142]
	;; [unrolled: 1-line block ×3, first 2 shown]
	v_add_f64_e32 v[126:127], v[135:136], v[126:127]
	v_add_f64_e32 v[2:3], v[8:9], v[2:3]
	;; [unrolled: 1-line block ×6, first 2 shown]
	v_mul_f64_e32 v[155:156], s[22:23], v[36:37]
	v_mul_f64_e32 v[157:158], s[34:35], v[36:37]
	;; [unrolled: 1-line block ×8, first 2 shown]
	v_fma_f64 v[76:77], v[80:81], s[6:7], v[143:144]
	v_fma_f64 v[143:144], v[80:81], s[6:7], -v[143:144]
	v_fma_f64 v[161:162], v[120:121], s[6:7], -v[191:192]
	;; [unrolled: 1-line block ×3, first 2 shown]
	v_add_f64_e32 v[0:1], v[46:47], v[0:1]
	v_add_f64_e32 v[4:5], v[110:111], v[4:5]
	;; [unrolled: 1-line block ×8, first 2 shown]
	v_fma_f64 v[165:166], v[80:81], s[16:17], v[149:150]
	v_add_f64_e32 v[44:45], v[68:69], v[44:45]
	v_add_f64_e32 v[68:69], v[122:123], v[104:105]
	;; [unrolled: 1-line block ×7, first 2 shown]
	v_fma_f64 v[94:95], v[80:81], s[2:3], v[145:146]
	v_fma_f64 v[145:146], v[80:81], s[2:3], -v[145:146]
	v_fma_f64 v[163:164], v[80:81], s[12:13], v[147:148]
	v_fma_f64 v[147:148], v[80:81], s[12:13], -v[147:148]
	v_fma_f64 v[149:150], v[80:81], s[16:17], -v[149:150]
	v_add_f64_e32 v[82:83], v[141:142], v[82:83]
	v_add_f64_e32 v[2:3], v[20:21], v[2:3]
	;; [unrolled: 1-line block ×5, first 2 shown]
	v_fma_f64 v[128:129], v[92:93], s[20:21], -v[157:158]
	v_fma_f64 v[130:131], v[92:93], s[2:3], v[36:37]
	v_fma_f64 v[36:37], v[92:93], s[2:3], -v[36:37]
	v_fma_f64 v[133:134], v[112:113], s[12:13], v[114:115]
	v_fma_f64 v[114:115], v[112:113], s[12:13], -v[114:115]
	v_fma_f64 v[137:138], v[112:113], s[6:7], -v[199:200]
	v_fma_f64 v[141:142], v[112:113], s[20:21], -v[201:202]
	v_add_f64_e32 v[0:1], v[30:31], v[0:1]
	v_add_f64_e32 v[4:5], v[102:103], v[4:5]
	;; [unrolled: 1-line block ×8, first 2 shown]
	v_fma_f64 v[102:103], v[80:81], s[20:21], v[28:29]
	v_fma_f64 v[28:29], v[80:81], s[20:21], -v[28:29]
	v_fma_f64 v[80:81], v[92:93], s[16:17], v[151:152]
	v_fma_f64 v[110:111], v[92:93], s[16:17], -v[151:152]
	;; [unrolled: 2-line block ×3, first 2 shown]
	v_fma_f64 v[153:154], v[120:121], s[6:7], v[191:192]
	v_fma_f64 v[167:168], v[120:121], s[2:3], v[193:194]
	;; [unrolled: 1-line block ×3, first 2 shown]
	v_fma_f64 v[173:174], v[120:121], s[12:13], -v[195:196]
	v_fma_f64 v[191:192], v[120:121], s[16:17], v[197:198]
	v_fma_f64 v[193:194], v[120:121], s[16:17], -v[197:198]
	v_fma_f64 v[195:196], v[120:121], s[20:21], v[70:71]
	v_fma_f64 v[70:71], v[120:121], s[20:21], -v[70:71]
	v_add_f64_e32 v[120:121], v[139:140], v[126:127]
	v_add_f64_e32 v[126:127], v[243:244], v[135:136]
	v_fma_f64 v[135:136], v[112:113], s[6:7], v[199:200]
	v_fma_f64 v[139:140], v[112:113], s[20:21], v[201:202]
	v_add_f64_e32 v[44:45], v[76:77], v[44:45]
	v_add_f64_e32 v[76:77], v[94:95], v[104:105]
	;; [unrolled: 1-line block ×15, first 2 shown]
	v_fma_f64 v[88:89], v[92:93], s[6:7], v[155:156]
	v_fma_f64 v[96:97], v[92:93], s[6:7], -v[155:156]
	v_fma_f64 v[98:99], v[92:93], s[20:21], v[157:158]
	v_fma_f64 v[92:93], v[112:113], s[16:17], v[100:101]
	v_fma_f64 v[100:101], v[112:113], s[16:17], -v[100:101]
	v_fma_f64 v[155:156], v[112:113], s[2:3], v[108:109]
	v_fma_f64 v[108:109], v[112:113], s[2:3], -v[108:109]
	v_add_f64_e32 v[112:113], v[165:166], v[122:123]
	v_add_f64_e32 v[102:103], v[102:103], v[124:125]
	;; [unrolled: 1-line block ×5, first 2 shown]
	v_mad_i32_i24 v190, 0xffffffb0, v184, v132
	v_add_nc_u32_e32 v188, 0x6e, v184
	v_add_f64_e32 v[106:107], v[147:148], v[120:121]
	v_add_f64_e32 v[116:117], v[171:172], v[126:127]
	s_delay_alu instid0(VALU_DEP_4)
	v_add_nc_u32_e32 v197, 0x2400, v190
	v_add_f64_e32 v[120:121], v[80:81], v[44:45]
	v_add_f64_e32 v[118:119], v[118:119], v[76:77]
	;; [unrolled: 1-line block ×13, first 2 shown]
	v_mad_i32_i24 v84, 0xffffffb0, v186, v178
	v_add_f64_e32 v[104:105], v[88:89], v[104:105]
	v_add_nc_u32_e32 v191, 0x800, v190
	v_add_nc_u32_e32 v194, 0xc00, v190
	;; [unrolled: 1-line block ×5, first 2 shown]
	v_add_f64_e32 v[98:99], v[98:99], v[112:113]
	v_add_f64_e32 v[102:103], v[130:131], v[102:103]
	;; [unrolled: 1-line block ×5, first 2 shown]
	ds_load_2addr_b64 v[0:3], v190 offset1:110
	ds_load_b64 v[182:183], v84
	v_add_f64_e32 v[96:97], v[96:97], v[106:107]
	v_add_f64_e32 v[106:107], v[128:129], v[82:83]
	v_add_f64_e32 v[116:117], v[135:136], v[116:117]
	v_add_nc_u32_e32 v196, 0x1400, v190
	v_add_f64_e32 v[124:125], v[14:15], v[10:11]
	v_add_f64_e32 v[4:5], v[86:87], v[4:5]
	;; [unrolled: 1-line block ×8, first 2 shown]
	ds_load_2addr_b64 v[8:11], v190 offset0:165 offset1:220
	ds_load_2addr_b64 v[80:83], v191 offset0:19 offset1:74
	;; [unrolled: 1-line block ×11, first 2 shown]
	v_mul_i32_i24_e32 v108, 0xffffffb0, v186
	global_wb scope:SCOPE_SE
	s_wait_dscnt 0x0
	s_barrier_signal -1
	s_barrier_wait -1
	global_inv scope:SCOPE_SE
	ds_store_2addr_b64 v132, v[98:99], v[102:103] offset0:4 offset1:5
	ds_store_2addr_b64 v132, v[112:113], v[106:107] offset0:6 offset1:7
	;; [unrolled: 1-line block ×3, first 2 shown]
	ds_store_b64 v132, v[110:111] offset:80
	ds_store_2addr_b64 v132, v[124:125], v[120:121] offset1:1
	ds_store_2addr_b64 v132, v[118:119], v[104:105] offset0:2 offset1:3
	ds_store_2addr_b64 v178, v[4:5], v[92:93] offset1:1
	ds_store_2addr_b64 v178, v[122:123], v[116:117] offset0:2 offset1:3
	ds_store_2addr_b64 v178, v[126:127], v[130:131] offset0:4 offset1:5
	;; [unrolled: 1-line block ×4, first 2 shown]
	ds_store_b64 v178, v[100:101] offset:80
	s_and_saveexec_b32 s30, s0
	s_cbranch_execz .LBB0_19
; %bb.18:
	v_add_f64_e32 v[4:5], v[66:67], v[6:7]
	v_add_f64_e64 v[16:17], v[64:65], -v[16:17]
	s_mov_b32 s24, 0xf8bb580b
	s_mov_b32 s16, 0xbb3a28a1
	;; [unrolled: 1-line block ×8, first 2 shown]
	v_add_f64_e64 v[24:25], v[56:57], -v[24:25]
	v_add_f64_e32 v[56:57], v[18:19], v[66:67]
	s_mov_b32 s14, 0x43842ef
	s_mov_b32 s15, 0xbfefac9e
	;; [unrolled: 1-line block ×12, first 2 shown]
	s_wait_alu 0xfffe
	s_mov_b32 s34, s20
	s_mov_b32 s28, s14
	;; [unrolled: 1-line block ×4, first 2 shown]
	v_add_f64_e64 v[32:33], v[48:49], -v[32:33]
	v_add_f64_e32 v[48:49], v[26:27], v[58:59]
	v_add_f64_e64 v[60:61], v[72:73], -v[60:61]
	v_add_f64_e64 v[40:41], v[40:41], -v[52:53]
	v_add_f64_e32 v[4:5], v[58:59], v[4:5]
	v_mul_f64_e32 v[64:65], s[24:25], v[16:17]
	v_mul_f64_e32 v[66:67], s[12:13], v[16:17]
	;; [unrolled: 1-line block ×7, first 2 shown]
	s_wait_alu 0xfffe
	v_mul_f64_e32 v[98:99], s[34:35], v[24:25]
	v_mul_f64_e32 v[100:101], s[28:29], v[24:25]
	;; [unrolled: 1-line block ×3, first 2 shown]
	s_mov_b32 s13, 0x3fed1bb4
	v_mul_f64_e32 v[72:73], s[34:35], v[32:33]
	v_mul_f64_e32 v[113:114], s[24:25], v[32:33]
	;; [unrolled: 1-line block ×5, first 2 shown]
	v_add_f64_e32 v[4:5], v[50:51], v[4:5]
	v_fma_f64 v[102:103], v[56:57], s[6:7], v[64:65]
	v_fma_f64 v[104:105], v[56:57], s[0:1], v[66:67]
	v_fma_f64 v[66:67], v[56:57], s[0:1], -v[66:67]
	v_fma_f64 v[106:107], v[56:57], s[18:19], v[92:93]
	v_fma_f64 v[92:93], v[56:57], s[18:19], -v[92:93]
	;; [unrolled: 2-line block ×4, first 2 shown]
	v_fma_f64 v[56:57], v[56:57], s[6:7], -v[64:65]
	v_add_f64_e32 v[50:51], v[34:35], v[50:51]
	v_mul_f64_e32 v[64:65], s[14:15], v[32:33]
	s_wait_alu 0xfffe
	v_mul_f64_e32 v[32:33], s[12:13], v[32:33]
	v_fma_f64 v[117:118], v[48:49], s[0:1], v[58:59]
	v_fma_f64 v[58:59], v[48:49], s[0:1], -v[58:59]
	v_fma_f64 v[119:120], v[48:49], s[18:19], v[96:97]
	v_fma_f64 v[96:97], v[48:49], s[18:19], -v[96:97]
	v_fma_f64 v[121:122], v[48:49], s[22:23], v[98:99]
	v_fma_f64 v[98:99], v[48:49], s[22:23], -v[98:99]
	v_fma_f64 v[123:124], v[48:49], s[2:3], v[100:101]
	v_fma_f64 v[100:101], v[48:49], s[2:3], -v[100:101]
	v_fma_f64 v[125:126], v[48:49], s[6:7], v[24:25]
	v_fma_f64 v[24:25], v[48:49], s[6:7], -v[24:25]
	v_add_f64_e32 v[4:5], v[74:75], v[4:5]
	v_add_f64_e32 v[48:49], v[6:7], v[102:103]
	;; [unrolled: 1-line block ×12, first 2 shown]
	v_mul_f64_e32 v[74:75], s[28:29], v[60:61]
	v_mul_f64_e32 v[111:112], s[24:25], v[60:61]
	;; [unrolled: 1-line block ×3, first 2 shown]
	v_fma_f64 v[129:130], v[50:51], s[2:3], v[64:65]
	v_fma_f64 v[64:65], v[50:51], s[2:3], -v[64:65]
	v_fma_f64 v[131:132], v[50:51], s[22:23], v[72:73]
	v_fma_f64 v[72:73], v[50:51], s[22:23], -v[72:73]
	;; [unrolled: 2-line block ×5, first 2 shown]
	v_add_f64_e32 v[4:5], v[42:43], v[4:5]
	v_add_f64_e32 v[48:49], v[117:118], v[48:49]
	;; [unrolled: 1-line block ×11, first 2 shown]
	v_mul_f64_e32 v[58:59], s[26:27], v[40:41]
	v_mul_f64_e32 v[94:95], s[16:17], v[40:41]
	;; [unrolled: 1-line block ×3, first 2 shown]
	v_fma_f64 v[102:103], v[56:57], s[18:19], v[52:53]
	v_fma_f64 v[52:53], v[56:57], s[18:19], -v[52:53]
	v_fma_f64 v[104:105], v[56:57], s[2:3], v[74:75]
	v_fma_f64 v[74:75], v[56:57], s[2:3], -v[74:75]
	;; [unrolled: 2-line block ×3, first 2 shown]
	v_fma_f64 v[119:120], v[56:57], s[0:1], v[60:61]
	v_add_f64_e32 v[4:5], v[54:55], v[4:5]
	v_mul_f64_e32 v[54:55], s[20:21], v[40:41]
	v_mul_f64_e32 v[40:41], s[12:13], v[40:41]
	v_add_f64_e32 v[48:49], v[129:130], v[48:49]
	v_add_f64_e32 v[50:51], v[131:132], v[50:51]
	;; [unrolled: 1-line block ×5, first 2 shown]
	v_fma_f64 v[64:65], v[42:43], s[18:19], v[94:95]
	v_fma_f64 v[94:95], v[42:43], s[18:19], -v[94:95]
	v_add_f64_e32 v[4:5], v[62:63], v[4:5]
	v_add_f64_e32 v[62:63], v[121:122], v[109:110]
	v_fma_f64 v[109:110], v[56:57], s[6:7], -v[111:112]
	v_fma_f64 v[111:112], v[56:57], s[22:23], v[127:128]
	v_fma_f64 v[56:57], v[56:57], s[0:1], -v[60:61]
	v_add_f64_e32 v[60:61], v[72:73], v[66:67]
	v_add_f64_e32 v[66:67], v[133:134], v[96:97]
	;; [unrolled: 1-line block ×4, first 2 shown]
	v_fma_f64 v[32:33], v[42:43], s[22:23], v[54:55]
	v_fma_f64 v[54:55], v[42:43], s[22:23], -v[54:55]
	v_fma_f64 v[96:97], v[42:43], s[2:3], v[98:99]
	v_fma_f64 v[98:99], v[42:43], s[2:3], -v[98:99]
	;; [unrolled: 2-line block ×3, first 2 shown]
	v_add_f64_e32 v[6:7], v[52:53], v[6:7]
	v_add_f64_e32 v[4:5], v[34:35], v[4:5]
	;; [unrolled: 1-line block ×3, first 2 shown]
	v_fma_f64 v[62:63], v[42:43], s[6:7], v[58:59]
	v_fma_f64 v[58:59], v[42:43], s[6:7], -v[58:59]
	v_add_f64_e32 v[42:43], v[102:103], v[48:49]
	v_add_f64_e32 v[48:49], v[104:105], v[50:51]
	;; [unrolled: 1-line block ×21, first 2 shown]
	v_mad_u32_u24 v26, 0x58, v188, 0
	ds_store_2addr_b64 v26, v[48:49], v[50:51] offset0:4 offset1:5
	ds_store_2addr_b64 v26, v[24:25], v[40:41] offset0:6 offset1:7
	ds_store_2addr_b64 v26, v[4:5], v[32:33] offset1:1
	ds_store_2addr_b64 v26, v[34:35], v[18:19] offset0:2 offset1:3
	ds_store_2addr_b64 v26, v[16:17], v[42:43] offset0:8 offset1:9
	ds_store_b64 v26, v[6:7] offset:80
.LBB0_19:
	s_wait_alu 0xfffe
	s_or_b32 exec_lo, exec_lo, s30
	v_dual_mov_b32 v179, 0 :: v_dual_and_b32 v4, 0xff, v184
	v_add_nc_u32_e32 v187, 0xdc, v184
	v_and_b32_e32 v6, 0xff, v186
	v_and_b32_e32 v181, 0xff, v188
	s_delay_alu instid0(VALU_DEP_4)
	v_mul_lo_u16 v4, 0x75, v4
	v_add_nc_u32_e32 v189, 0xa5, v184
	v_and_b32_e32 v180, 0xffff, v187
	global_wb scope:SCOPE_SE
	s_wait_dscnt 0x0
	s_barrier_signal -1
	v_lshrrev_b16 v4, 8, v4
	v_and_b32_e32 v200, 0xff, v189
	v_mul_u32_u24_e32 v7, 0xba2f, v180
	s_barrier_wait -1
	global_inv scope:SCOPE_SE
	v_sub_nc_u16 v5, v184, v4
	v_add_nc_u32_e32 v198, v178, v108
	v_lshrrev_b32_e32 v206, 19, v7
	v_lshlrev_b32_e32 v178, 2, v184
	v_mul_lo_u16 v210, 0x95, v181
	v_lshrrev_b16 v5, 1, v5
	v_mul_u32_u24_e32 v211, 0x29e5, v180
	s_mov_b32 s12, 0x134454ff
	s_mov_b32 s13, 0x3fee6f0e
	v_lshrrev_b16 v236, 13, v210
	v_and_b32_e32 v5, 0x7f, v5
	s_mov_b32 s17, 0xbfee6f0e
	s_wait_alu 0xfffe
	s_mov_b32 s16, s12
	s_mov_b32 s6, 0x4755a5e
	;; [unrolled: 1-line block ×3, first 2 shown]
	v_add_nc_u16 v4, v5, v4
	v_mul_lo_u16 v5, 0x75, v6
	v_mul_lo_u16 v6, 0x75, v181
	v_lshlrev_b64_e32 v[180:181], 4, v[178:179]
	v_lshrrev_b32_e32 v178, 16, v211
	v_lshrrev_b16 v201, 3, v4
	v_lshrrev_b16 v5, 8, v5
	v_mul_lo_u16 v4, v206, 11
	v_lshrrev_b16 v6, 8, v6
	v_sub_nc_u16 v237, v187, v178
	v_mul_lo_u16 v7, v201, 11
	v_sub_nc_u16 v16, v186, v5
	v_sub_nc_u16 v4, v187, v4
	v_sub_nc_u16 v17, v188, v6
	v_lshrrev_b16 v253, 1, v237
	v_sub_nc_u16 v7, v184, v7
	v_lshrrev_b16 v16, 1, v16
	v_and_b32_e32 v202, 0xffff, v4
	v_mul_lo_u16 v4, 0x75, v200
	v_lshrrev_b16 v17, 1, v17
	v_and_b32_e32 v203, 0xff, v7
	v_and_b32_e32 v16, 0x7f, v16
	v_lshlrev_b32_e32 v7, 6, v202
	v_lshrrev_b16 v4, 8, v4
	v_and_b32_e32 v17, 0x7f, v17
	v_lshlrev_b32_e32 v18, 6, v203
	v_add_nc_u16 v5, v16, v5
	s_clause 0x1
	global_load_b128 v[148:151], v7, s[4:5]
	global_load_b128 v[152:155], v7, s[4:5] offset:16
	v_sub_nc_u16 v16, v189, v4
	v_add_nc_u16 v6, v17, v6
	v_lshrrev_b16 v204, 3, v5
	s_clause 0x1
	global_load_b128 v[144:147], v18, s[4:5] offset:16
	global_load_b128 v[160:163], v18, s[4:5]
	v_lshrrev_b16 v5, 1, v16
	v_lshrrev_b16 v207, 3, v6
	v_mul_lo_u16 v16, v204, 11
	s_clause 0x1
	global_load_b128 v[156:159], v7, s[4:5] offset:32
	global_load_b128 v[164:167], v7, s[4:5] offset:48
	v_and_b32_e32 v5, 0x7f, v5
	s_clause 0x1
	global_load_b128 v[168:171], v18, s[4:5] offset:32
	global_load_b128 v[32:35], v18, s[4:5] offset:48
	v_sub_nc_u16 v6, v186, v16
	s_mov_b32 s15, 0xbfe2cf23
	s_wait_alu 0xfffe
	s_mov_b32 s14, s6
	v_add_nc_u16 v4, v5, v4
	v_mul_lo_u16 v5, v207, 11
	v_and_b32_e32 v205, 0xff, v6
	s_mov_b32 s2, 0x372fe950
	s_mov_b32 s3, 0x3fd3c6ef
	v_lshrrev_b16 v208, 3, v4
	v_sub_nc_u16 v4, v188, v5
	v_lshlrev_b32_e32 v5, 6, v205
	v_lshlrev_b32_e32 v205, 3, v205
	v_add_co_u32 v180, s0, s4, v180
	v_mul_lo_u16 v6, v208, 11
	global_load_b128 v[64:67], v5, s[4:5]
	v_and_b32_e32 v209, 0xff, v4
	s_clause 0x1
	global_load_b128 v[60:63], v5, s[4:5] offset:16
	global_load_b128 v[52:55], v5, s[4:5] offset:32
	v_and_b32_e32 v239, 0xffff, v208
	v_sub_nc_u16 v6, v189, v6
	s_wait_alu 0xf1ff
	v_add_co_ci_u32_e64 v181, s0, s5, v181, s0
	v_lshlrev_b32_e32 v4, 6, v209
	s_clause 0x1
	global_load_b128 v[100:103], v5, s[4:5] offset:48
	global_load_b128 v[96:99], v4, s[4:5]
	v_and_b32_e32 v199, 0xff, v6
	s_clause 0x1
	global_load_b128 v[104:107], v4, s[4:5] offset:16
	global_load_b128 v[92:95], v4, s[4:5] offset:32
	v_lshlrev_b32_e32 v240, 3, v209
	v_lshlrev_b32_e32 v5, 6, v199
	s_clause 0x4
	global_load_b128 v[72:75], v4, s[4:5] offset:48
	global_load_b128 v[56:59], v5, s[4:5]
	global_load_b128 v[48:51], v5, s[4:5] offset:16
	global_load_b128 v[40:43], v5, s[4:5] offset:32
	;; [unrolled: 1-line block ×3, first 2 shown]
	ds_load_2addr_b64 v[4:7], v190 offset1:110
	ds_load_2addr_b64 v[136:139], v191 offset0:19 offset1:74
	ds_load_2addr_b64 v[172:175], v194 offset0:111 offset1:166
	;; [unrolled: 1-line block ×11, first 2 shown]
	s_wait_loadcnt_dscnt 0x1309
	v_mul_f64_e32 v[210:211], v[172:173], v[150:151]
	v_mul_f64_e32 v[212:213], v[88:89], v[150:151]
	v_mul_u32_u24_e32 v150, 0x1b8, v206
	v_lshlrev_b32_e32 v151, 3, v202
	v_and_b32_e32 v206, 0xffff, v201
	s_wait_loadcnt 0x11
	v_mul_f64_e32 v[214:215], v[174:175], v[146:147]
	v_mul_f64_e32 v[201:202], v[90:91], v[146:147]
	v_and_b32_e32 v147, 0xffff, v204
	v_and_b32_e32 v204, 0xffff, v207
	v_add3_u32 v146, 0, v150, v151
	v_mul_u32_u24_e32 v150, 0x1b8, v206
	s_wait_dscnt 0x1
	v_mul_f64_e32 v[206:207], v[122:123], v[154:155]
	v_mul_f64_e32 v[154:155], v[38:39], v[154:155]
	v_mul_u32_u24_e32 v238, 0x1b8, v204
	s_wait_loadcnt 0xf
	v_mul_f64_e32 v[216:217], v[140:141], v[158:159]
	v_mul_f64_e32 v[158:159], v[84:85], v[158:159]
	v_lshlrev_b32_e32 v151, 3, v203
	s_wait_loadcnt_dscnt 0xe00
	v_mul_f64_e32 v[203:204], v[114:115], v[166:167]
	v_mul_f64_e32 v[166:167], v[22:23], v[166:167]
	;; [unrolled: 1-line block ×4, first 2 shown]
	s_wait_loadcnt 0xd
	v_mul_f64_e32 v[218:219], v[132:133], v[170:171]
	v_mul_f64_e32 v[170:171], v[76:77], v[170:171]
	s_wait_loadcnt 0xc
	v_mul_f64_e32 v[220:221], v[142:143], v[34:35]
	v_mul_f64_e32 v[222:223], v[86:87], v[34:35]
	v_add3_u32 v150, 0, v150, v151
	v_mul_u32_u24_e32 v147, 0x1b8, v147
	s_wait_loadcnt 0xb
	v_mul_f64_e32 v[224:225], v[138:139], v[66:67]
	s_wait_loadcnt 0xa
	v_mul_f64_e32 v[228:229], v[128:129], v[62:63]
	;; [unrolled: 2-line block ×3, first 2 shown]
	v_mul_f64_e32 v[226:227], v[82:83], v[66:67]
	v_mul_f64_e32 v[230:231], v[68:69], v[62:63]
	v_mul_f64_e32 v[234:235], v[78:79], v[54:55]
	v_add3_u32 v147, 0, v147, v205
	v_fma_f64 v[88:89], v[88:89], v[148:149], -v[210:211]
	v_fma_f64 v[148:149], v[172:173], v[148:149], v[212:213]
	s_wait_loadcnt 0x8
	v_mul_f64_e32 v[172:173], v[124:125], v[102:103]
	v_mul_f64_e32 v[102:103], v[44:45], v[102:103]
	v_fma_f64 v[66:67], v[90:91], v[144:145], -v[214:215]
	s_wait_loadcnt 0x7
	v_mul_f64_e32 v[90:91], v[116:117], v[98:99]
	v_mul_f64_e32 v[98:99], v[28:29], v[98:99]
	v_fma_f64 v[62:63], v[174:175], v[144:145], v[201:202]
	s_wait_loadcnt 0x6
	v_mul_f64_e32 v[144:145], v[130:131], v[106:107]
	v_mul_f64_e32 v[106:107], v[70:71], v[106:107]
	s_wait_loadcnt 0x5
	v_mul_f64_e32 v[174:175], v[108:109], v[94:95]
	v_mul_f64_e32 v[94:95], v[12:13], v[94:95]
	v_fma_f64 v[201:202], v[38:39], v[152:153], -v[206:207]
	v_fma_f64 v[122:123], v[122:123], v[152:153], v[154:155]
	s_wait_loadcnt 0x4
	v_mul_f64_e32 v[151:152], v[126:127], v[74:75]
	v_mul_f64_e32 v[153:154], v[46:47], v[74:75]
	v_fma_f64 v[54:55], v[84:85], v[156:157], -v[216:217]
	v_fma_f64 v[38:39], v[140:141], v[156:157], v[158:159]
	s_wait_loadcnt 0x3
	v_mul_f64_e32 v[84:85], v[118:119], v[58:59]
	v_fma_f64 v[34:35], v[22:23], v[164:165], -v[203:204]
	v_fma_f64 v[22:23], v[114:115], v[164:165], v[166:167]
	s_wait_loadcnt 0x2
	v_mul_f64_e32 v[114:115], v[120:121], v[50:51]
	v_mul_f64_e32 v[155:156], v[36:37], v[50:51]
	v_fma_f64 v[80:81], v[80:81], v[160:161], -v[208:209]
	v_fma_f64 v[136:137], v[136:137], v[160:161], v[162:163]
	s_wait_loadcnt 0x1
	v_mul_f64_e32 v[157:158], v[110:111], v[42:43]
	v_mul_f64_e32 v[159:160], v[14:15], v[42:43]
	v_fma_f64 v[50:51], v[76:77], v[168:169], -v[218:219]
	s_wait_loadcnt 0x0
	v_mul_f64_e32 v[75:76], v[112:113], v[26:27]
	v_mul_f64_e32 v[140:141], v[30:31], v[58:59]
	v_fma_f64 v[42:43], v[132:133], v[168:169], v[170:171]
	v_mul_f64_e32 v[132:133], v[20:21], v[26:27]
	v_fma_f64 v[86:87], v[86:87], v[32:33], -v[220:221]
	v_fma_f64 v[82:83], v[82:83], v[64:65], -v[224:225]
	v_mul_u32_u24_e32 v77, 0x1b8, v239
	v_lshlrev_b32_e32 v161, 3, v199
	v_fma_f64 v[68:69], v[68:69], v[60:61], -v[228:229]
	v_fma_f64 v[32:33], v[142:143], v[32:33], v[222:223]
	v_fma_f64 v[64:65], v[138:139], v[64:65], v[226:227]
	v_fma_f64 v[44:45], v[44:45], v[100:101], -v[172:173]
	v_add3_u32 v254, 0, v77, v161
	v_fma_f64 v[77:78], v[78:79], v[52:53], -v[232:233]
	v_fma_f64 v[60:61], v[128:129], v[60:61], v[230:231]
	v_fma_f64 v[100:101], v[124:125], v[100:101], v[102:103]
	v_fma_f64 v[28:29], v[28:29], v[96:97], -v[90:91]
	v_fma_f64 v[90:91], v[116:117], v[96:97], v[98:99]
	v_fma_f64 v[70:71], v[70:71], v[104:105], -v[144:145]
	;; [unrolled: 2-line block ×3, first 2 shown]
	v_fma_f64 v[92:93], v[108:109], v[92:93], v[94:95]
	v_add_f64_e64 v[102:103], v[88:89], -v[201:202]
	v_add_f64_e64 v[108:109], v[201:202], -v[88:89]
	v_fma_f64 v[46:47], v[46:47], v[72:73], -v[151:152]
	v_fma_f64 v[72:73], v[126:127], v[72:73], v[153:154]
	v_add_f64_e64 v[126:127], v[122:123], -v[148:149]
	v_fma_f64 v[52:53], v[134:135], v[52:53], v[234:235]
	v_fma_f64 v[30:31], v[30:31], v[56:57], -v[84:85]
	v_add_f64_e64 v[104:105], v[34:35], -v[54:55]
	v_add_f64_e64 v[128:129], v[38:39], -v[22:23]
	v_fma_f64 v[36:37], v[36:37], v[48:49], -v[114:115]
	v_fma_f64 v[48:49], v[120:121], v[48:49], v[155:156]
	v_add_f64_e64 v[94:95], v[148:149], -v[22:23]
	v_add_f64_e64 v[120:121], v[22:23], -v[38:39]
	v_fma_f64 v[14:15], v[14:15], v[40:41], -v[157:158]
	v_fma_f64 v[40:41], v[110:111], v[40:41], v[159:160]
	v_add_f64_e64 v[110:111], v[54:55], -v[34:35]
	v_fma_f64 v[20:21], v[20:21], v[24:25], -v[75:76]
	v_fma_f64 v[56:57], v[118:119], v[56:57], v[140:141]
	v_add_f64_e64 v[118:119], v[148:149], -v[122:123]
	v_fma_f64 v[24:25], v[112:113], v[24:25], v[132:133]
	v_add_f64_e32 v[112:113], v[18:19], v[148:149]
	v_add_f64_e32 v[124:125], v[148:149], v[22:23]
	v_add_f64_e64 v[148:149], v[66:67], -v[80:81]
	v_add_f64_e64 v[151:152], v[50:51], -v[86:87]
	v_add_f64_e32 v[153:154], v[4:5], v[136:137]
	v_add_f64_e32 v[167:168], v[182:183], v[82:83]
	ds_load_b64 v[26:27], v198
	v_add_f64_e32 v[130:131], v[0:1], v[80:81]
	v_add_f64_e32 v[132:133], v[66:67], v[50:51]
	;; [unrolled: 1-line block ×6, first 2 shown]
	v_add_f64_e64 v[140:141], v[80:81], -v[66:67]
	v_add_f64_e64 v[142:143], v[86:87], -v[50:51]
	v_add_f64_e32 v[144:145], v[80:81], v[86:87]
	v_add_f64_e32 v[169:170], v[68:69], v[77:78]
	v_add_f64_e64 v[134:135], v[136:137], -v[32:33]
	v_add_f64_e64 v[159:160], v[136:137], -v[62:63]
	;; [unrolled: 1-line block ×3, first 2 shown]
	v_add_f64_e32 v[163:164], v[136:137], v[32:33]
	v_add_f64_e64 v[136:137], v[62:63], -v[136:137]
	v_add_f64_e64 v[165:166], v[42:43], -v[32:33]
	v_add_f64_e32 v[205:206], v[82:83], v[44:45]
	v_mul_lo_u16 v59, 0x95, v200
	v_add_f64_e32 v[155:156], v[62:63], v[42:43]
	v_add_f64_e64 v[199:200], v[82:83], -v[68:69]
	v_add_f64_e64 v[203:204], v[44:45], -v[77:78]
	s_wait_dscnt 0x0
	v_add_f64_e32 v[211:212], v[26:27], v[64:65]
	v_add_f64_e32 v[102:103], v[102:103], v[104:105]
	;; [unrolled: 1-line block ×8, first 2 shown]
	v_add3_u32 v74, 0, v238, v240
	v_add_f64_e32 v[237:238], v[28:29], v[46:47]
	v_add_f64_e32 v[213:214], v[60:61], v[52:53]
	;; [unrolled: 1-line block ×3, first 2 shown]
	v_add_f64_e64 v[207:208], v[68:69], -v[82:83]
	v_add_f64_e64 v[209:210], v[77:78], -v[44:45]
	;; [unrolled: 1-line block ×4, first 2 shown]
	v_add_f64_e32 v[225:226], v[2:3], v[28:29]
	v_add_f64_e32 v[243:244], v[6:7], v[90:91]
	;; [unrolled: 1-line block ×4, first 2 shown]
	v_add_f64_e64 v[98:99], v[122:123], -v[38:39]
	v_add_f64_e64 v[138:139], v[62:63], -v[42:43]
	v_add_f64_e32 v[112:113], v[112:113], v[122:123]
	v_add_f64_e64 v[122:123], v[30:31], -v[36:37]
	v_add_f64_e32 v[118:119], v[118:119], v[120:121]
	;; [unrolled: 2-line block ×3, first 2 shown]
	v_add_f64_e32 v[151:152], v[16:17], v[56:57]
	v_add_f64_e32 v[62:63], v[153:154], v[62:63]
	;; [unrolled: 1-line block ×3, first 2 shown]
	v_add_f64_e64 v[215:216], v[68:69], -v[77:78]
	v_add_f64_e32 v[68:69], v[167:168], v[68:69]
	v_add_f64_e32 v[167:168], v[56:57], v[24:25]
	v_add_f64_e64 v[157:158], v[66:67], -v[50:51]
	v_add_f64_e32 v[66:67], v[130:131], v[66:67]
	v_fma_f64 v[132:133], v[132:133], -0.5, v[0:1]
	v_add_f64_e64 v[88:89], v[88:89], -v[34:35]
	v_add_f64_e64 v[79:80], v[80:81], -v[86:87]
	;; [unrolled: 1-line block ×3, first 2 shown]
	v_add_f64_e32 v[75:76], v[75:76], v[201:202]
	v_add_f64_e64 v[130:131], v[36:37], -v[30:31]
	v_add_f64_e32 v[140:141], v[140:141], v[142:143]
	v_add_f64_e64 v[142:143], v[14:15], -v[20:21]
	v_fma_f64 v[83:84], v[84:85], -0.5, v[10:11]
	v_fma_f64 v[10:11], v[106:107], -0.5, v[10:11]
	;; [unrolled: 1-line block ×4, first 2 shown]
	v_add_f64_e64 v[116:117], v[201:202], -v[54:55]
	v_fma_f64 v[18:19], v[124:125], -0.5, v[18:19]
	v_add_f64_e64 v[171:172], v[64:65], -v[100:101]
	v_fma_f64 v[169:170], v[169:170], -0.5, v[182:183]
	v_add_f64_e64 v[173:174], v[60:61], -v[52:53]
	v_add_f64_e32 v[159:160], v[159:160], v[161:162]
	v_add_f64_e64 v[161:162], v[56:57], -v[48:49]
	v_add_f64_e32 v[136:137], v[136:137], v[165:166]
	v_add_f64_e64 v[165:166], v[24:25], -v[40:41]
	v_fma_f64 v[182:183], v[205:206], -0.5, v[182:183]
	v_add_f64_e64 v[64:65], v[60:61], -v[64:65]
	v_add_f64_e64 v[223:224], v[52:53], -v[100:101]
	v_add_f64_e32 v[199:200], v[199:200], v[203:204]
	v_add_f64_e64 v[203:204], v[48:49], -v[56:57]
	v_add_f64_e64 v[205:206], v[40:41], -v[24:25]
	;; [unrolled: 1-line block ×3, first 2 shown]
	v_add_f64_e32 v[60:61], v[211:212], v[60:61]
	v_add_f64_e64 v[106:107], v[48:49], -v[40:41]
	v_add_f64_e64 v[211:212], v[36:37], -v[14:15]
	v_fma_f64 v[144:145], v[155:156], -0.5, v[4:5]
	v_add_f64_e32 v[36:37], v[104:105], v[36:37]
	v_fma_f64 v[104:105], v[110:111], -0.5, v[8:9]
	v_fma_f64 v[8:9], v[128:129], -0.5, v[8:9]
	v_add_f64_e64 v[229:230], v[90:91], -v[72:73]
	v_add_f64_e64 v[247:248], v[90:91], -v[96:97]
	v_add_f64_e64 v[90:91], v[96:97], -v[90:91]
	v_add_f64_e64 v[201:202], v[92:93], -v[72:73]
	v_fma_f64 v[4:5], v[163:164], -0.5, v[4:5]
	v_fma_f64 v[163:164], v[227:228], -0.5, v[2:3]
	v_add_f64_e64 v[231:232], v[96:97], -v[92:93]
	v_fma_f64 v[2:3], v[237:238], -0.5, v[2:3]
	v_fma_f64 v[155:156], v[213:214], -0.5, v[26:27]
	;; [unrolled: 1-line block ×3, first 2 shown]
	v_add_f64_e64 v[233:234], v[28:29], -v[70:71]
	v_add_f64_e64 v[239:240], v[70:71], -v[28:29]
	;; [unrolled: 1-line block ×3, first 2 shown]
	v_add_f64_e32 v[207:208], v[207:208], v[209:210]
	v_add_f64_e64 v[209:210], v[70:71], -v[12:13]
	v_add_f64_e32 v[124:125], v[217:218], v[219:220]
	v_add_f64_e32 v[70:71], v[225:226], v[70:71]
	;; [unrolled: 1-line block ×3, first 2 shown]
	v_fma_f64 v[219:220], v[245:246], -0.5, v[6:7]
	v_fma_f64 v[6:7], v[251:252], -0.5, v[6:7]
	v_add_f64_e64 v[30:31], v[30:31], -v[20:21]
	v_add_f64_e32 v[110:111], v[122:123], v[120:121]
	v_add_f64_e32 v[48:49], v[151:152], v[48:49]
	v_fma_f64 v[122:123], v[153:154], -0.5, v[16:17]
	v_fma_f64 v[16:17], v[167:168], -0.5, v[16:17]
	v_add_f64_e32 v[50:51], v[66:67], v[50:51]
	v_fma_f64 v[66:67], v[134:135], s[12:13], v[132:133]
	v_add_f64_e32 v[120:121], v[130:131], v[142:143]
	v_add_f64_e32 v[54:55], v[75:76], v[54:55]
	v_fma_f64 v[75:76], v[94:95], s[12:13], v[83:84]
	v_fma_f64 v[83:84], v[94:95], s[16:17], v[83:84]
	;; [unrolled: 1-line block ×4, first 2 shown]
	v_add_f64_e32 v[38:39], v[112:113], v[38:39]
	v_fma_f64 v[112:113], v[88:89], s[16:17], v[114:115]
	v_fma_f64 v[153:154], v[138:139], s[16:17], v[0:1]
	v_fma_f64 v[0:1], v[138:139], s[12:13], v[0:1]
	v_fma_f64 v[151:152], v[116:117], s[12:13], v[18:19]
	v_fma_f64 v[18:19], v[116:117], s[16:17], v[18:19]
	v_fma_f64 v[132:133], v[134:135], s[16:17], v[132:133]
	v_add_f64_e32 v[68:69], v[68:69], v[77:78]
	v_fma_f64 v[77:78], v[171:172], s[12:13], v[169:170]
	v_add_f64_e32 v[128:129], v[161:162], v[165:166]
	v_fma_f64 v[114:115], v[88:89], s[12:13], v[114:115]
	v_fma_f64 v[165:166], v[171:172], s[16:17], v[169:170]
	;; [unrolled: 1-line block ×4, first 2 shown]
	v_add_f64_e32 v[64:65], v[64:65], v[223:224]
	v_add_f64_e32 v[130:131], v[203:204], v[205:206]
	;; [unrolled: 1-line block ×3, first 2 shown]
	v_fma_f64 v[62:63], v[79:80], s[16:17], v[144:145]
	v_fma_f64 v[205:206], v[56:57], s[12:13], v[104:105]
	v_fma_f64 v[223:224], v[106:107], s[16:17], v[8:9]
	v_fma_f64 v[8:9], v[106:107], s[12:13], v[8:9]
	v_fma_f64 v[104:105], v[56:57], s[16:17], v[104:105]
	v_mul_lo_u16 v58, v236, 55
	v_add_f64_e64 v[235:236], v[46:47], -v[12:13]
	v_add_f64_e32 v[90:91], v[90:91], v[201:202]
	v_fma_f64 v[161:162], v[157:158], s[12:13], v[4:5]
	v_fma_f64 v[4:5], v[157:158], s[16:17], v[4:5]
	v_fma_f64 v[201:202], v[229:230], s[12:13], v[163:164]
	v_add_f64_e64 v[241:242], v[12:13], -v[46:47]
	v_fma_f64 v[144:145], v[79:80], s[12:13], v[144:145]
	v_fma_f64 v[203:204], v[231:232], s[16:17], v[2:3]
	v_fma_f64 v[2:3], v[231:232], s[12:13], v[2:3]
	v_add_f64_e32 v[52:53], v[60:61], v[52:53]
	v_fma_f64 v[60:61], v[81:82], s[16:17], v[155:156]
	v_fma_f64 v[163:164], v[229:230], s[16:17], v[163:164]
	;; [unrolled: 1-line block ×5, first 2 shown]
	v_add_f64_e64 v[249:250], v[72:73], -v[92:93]
	v_add_f64_e32 v[12:13], v[70:71], v[12:13]
	v_add_f64_e32 v[70:71], v[96:97], v[92:93]
	v_fma_f64 v[92:93], v[28:29], s[16:17], v[219:220]
	v_fma_f64 v[96:97], v[28:29], s[12:13], v[219:220]
	;; [unrolled: 1-line block ×4, first 2 shown]
	v_add_f64_e32 v[14:15], v[36:37], v[14:15]
	v_add_f64_e32 v[36:37], v[48:49], v[40:41]
	v_fma_f64 v[40:41], v[30:31], s[16:17], v[122:123]
	v_fma_f64 v[48:49], v[30:31], s[12:13], v[122:123]
	v_fma_f64 v[122:123], v[211:212], s[12:13], v[16:17]
	v_fma_f64 v[16:17], v[211:212], s[16:17], v[16:17]
	v_fma_f64 v[66:67], v[138:139], s[6:7], v[66:67]
	v_add_f64_e32 v[34:35], v[54:55], v[34:35]
	v_fma_f64 v[54:55], v[98:99], s[6:7], v[75:76]
	s_wait_alu 0xfffe
	v_fma_f64 v[75:76], v[98:99], s[14:15], v[83:84]
	v_fma_f64 v[83:84], v[94:95], s[6:7], v[142:143]
	;; [unrolled: 1-line block ×3, first 2 shown]
	v_add_f64_e32 v[94:95], v[38:39], v[22:23]
	v_fma_f64 v[22:23], v[116:117], s[14:15], v[112:113]
	v_fma_f64 v[112:113], v[134:135], s[6:7], v[153:154]
	;; [unrolled: 1-line block ×15, first 2 shown]
	v_add_f64_e32 v[50:51], v[50:51], v[86:87]
	v_add_f64_e32 v[85:86], v[42:43], v[32:33]
	v_fma_f64 v[32:33], v[157:158], s[14:15], v[62:63]
	v_add_f64_e32 v[213:214], v[233:234], v[235:236]
	v_fma_f64 v[134:135], v[231:232], s[6:7], v[201:202]
	v_fma_f64 v[62:63], v[79:80], s[14:15], v[161:162]
	;; [unrolled: 1-line block ×3, first 2 shown]
	v_add_f64_e32 v[217:218], v[239:240], v[241:242]
	v_fma_f64 v[142:143], v[229:230], s[6:7], v[203:204]
	v_fma_f64 v[2:3], v[229:230], s[14:15], v[2:3]
	;; [unrolled: 1-line block ×7, first 2 shown]
	v_add_f64_e32 v[44:45], v[68:69], v[44:45]
	v_fma_f64 v[68:69], v[215:216], s[6:7], v[155:156]
	v_add_f64_e32 v[221:222], v[247:248], v[249:250]
	v_add_f64_e32 v[12:13], v[12:13], v[46:47]
	v_fma_f64 v[46:47], v[209:210], s[14:15], v[92:93]
	v_fma_f64 v[92:93], v[28:29], s[14:15], v[219:220]
	;; [unrolled: 1-line block ×4, first 2 shown]
	v_add_f64_e32 v[14:15], v[14:15], v[20:21]
	v_fma_f64 v[20:21], v[211:212], s[14:15], v[40:41]
	v_fma_f64 v[40:41], v[30:31], s[14:15], v[122:123]
	;; [unrolled: 1-line block ×24, first 2 shown]
	v_add_f64_e32 v[52:53], v[52:53], v[100:101]
	v_fma_f64 v[100:101], v[118:119], s[2:3], v[22:23]
	v_fma_f64 v[102:103], v[118:119], s[2:3], v[38:39]
	;; [unrolled: 1-line block ×8, first 2 shown]
	v_add_f64_e32 v[70:71], v[70:71], v[72:73]
	v_fma_f64 v[124:125], v[221:222], s[2:3], v[46:47]
	v_fma_f64 v[92:93], v[90:91], s[2:3], v[92:93]
	v_fma_f64 v[89:90], v[90:91], s[2:3], v[6:7]
	v_fma_f64 v[83:84], v[108:109], s[2:3], v[83:84]
	v_fma_f64 v[10:11], v[108:109], s[2:3], v[10:11]
	v_fma_f64 v[81:82], v[221:222], s[2:3], v[81:82]
	v_add_f64_e32 v[72:73], v[36:37], v[24:25]
	v_fma_f64 v[98:99], v[126:127], s[2:3], v[98:99]
	v_fma_f64 v[108:109], v[126:127], s[2:3], v[18:19]
	;; [unrolled: 1-line block ×6, first 2 shown]
	global_wb scope:SCOPE_SE
	s_barrier_signal -1
	s_barrier_wait -1
	global_inv scope:SCOPE_SE
	ds_store_2addr_b64 v150, v[50:51], v[48:49] offset1:11
	ds_store_2addr_b64 v150, v[66:67], v[0:1] offset0:22 offset1:33
	ds_store_b64 v150, v[54:55] offset:352
	ds_store_2addr_b64 v147, v[44:45], v[77:78] offset1:11
	ds_store_2addr_b64 v147, v[96:97], v[104:105] offset0:22 offset1:33
	ds_store_b64 v147, v[87:88] offset:352
	;; [unrolled: 3-line block ×5, first 2 shown]
	v_lshrrev_b16 v54, 13, v59
	v_add_nc_u16 v55, v253, v178
	global_wb scope:SCOPE_SE
	s_wait_dscnt 0x0
	s_barrier_signal -1
	s_barrier_wait -1
	global_inv scope:SCOPE_SE
	ds_load_2addr_b64 v[4:7], v190 offset1:110
	ds_load_2addr_b64 v[26:29], v191 offset0:19 offset1:74
	ds_load_2addr_b64 v[12:15], v194 offset0:111 offset1:166
	;; [unrolled: 1-line block ×4, first 2 shown]
	ds_load_b64 v[24:25], v198
	ds_load_2addr_b64 v[34:37], v195 offset0:93 offset1:148
	ds_load_2addr_b64 v[38:41], v193 offset0:131 offset1:186
	;; [unrolled: 1-line block ×7, first 2 shown]
	global_wb scope:SCOPE_SE
	s_wait_dscnt 0x0
	s_barrier_signal -1
	s_barrier_wait -1
	global_inv scope:SCOPE_SE
	ds_store_2addr_b64 v150, v[85:86], v[110:111] offset1:11
	ds_store_2addr_b64 v150, v[62:63], v[120:121] offset0:22 offset1:33
	ds_store_b64 v150, v[118:119] offset:352
	ds_store_2addr_b64 v147, v[52:53], v[60:61] offset1:11
	ds_store_2addr_b64 v147, v[79:80], v[64:65] offset0:22 offset1:33
	ds_store_b64 v147, v[68:69] offset:352
	ds_store_2addr_b64 v74, v[70:71], v[124:125] offset1:11
	ds_store_2addr_b64 v74, v[92:93], v[89:90] offset0:22 offset1:33
	ds_store_b64 v74, v[81:82] offset:352
	ds_store_2addr_b64 v254, v[72:73], v[126:127] offset1:11
	ds_store_2addr_b64 v254, v[132:133], v[130:131] offset0:22 offset1:33
	ds_store_b64 v254, v[128:129] offset:352
	ds_store_2addr_b64 v146, v[94:95], v[100:101] offset1:11
	ds_store_2addr_b64 v146, v[98:99], v[108:109] offset0:22 offset1:33
	ds_store_b64 v146, v[102:103] offset:352
	v_mul_lo_u16 v62, v54, 55
	v_sub_nc_u16 v58, v188, v58
	v_lshrrev_b16 v63, 5, v55
	global_wb scope:SCOPE_SE
	s_wait_dscnt 0x0
	s_barrier_signal -1
	v_sub_nc_u16 v66, v189, v62
	v_and_b32_e32 v118, 0xff, v58
	v_mul_lo_u16 v67, v63, 55
	s_barrier_wait -1
	global_inv scope:SCOPE_SE
	v_and_b32_e32 v122, 0xff, v66
	v_lshlrev_b32_e32 v78, 6, v118
	v_sub_nc_u16 v79, v187, v67
	s_clause 0x1
	global_load_b128 v[50:53], v[180:181], off offset:704
	global_load_b128 v[54:57], v[180:181], off offset:720
	v_lshlrev_b32_e32 v94, 6, v122
	s_clause 0x4
	global_load_b128 v[58:61], v[180:181], off offset:736
	global_load_b128 v[62:65], v[180:181], off offset:752
	global_load_b128 v[66:69], v78, s[4:5] offset:704
	global_load_b128 v[70:73], v78, s[4:5] offset:720
	;; [unrolled: 1-line block ×3, first 2 shown]
	v_and_b32_e32 v126, 0xffff, v79
	s_clause 0x2
	global_load_b128 v[78:81], v78, s[4:5] offset:752
	global_load_b128 v[82:85], v94, s[4:5] offset:704
	;; [unrolled: 1-line block ×3, first 2 shown]
	v_lshl_add_u32 v178, v118, 3, 0
	v_lshl_add_u32 v247, v122, 3, 0
	v_add_nc_u32_e32 v249, 0x400, v190
	v_lshlrev_b32_e32 v110, 6, v126
	s_clause 0x5
	global_load_b128 v[90:93], v94, s[4:5] offset:736
	global_load_b128 v[94:97], v94, s[4:5] offset:752
	;; [unrolled: 1-line block ×6, first 2 shown]
	ds_load_2addr_b64 v[114:117], v191 offset0:19 offset1:74
	ds_load_2addr_b64 v[118:121], v194 offset0:111 offset1:166
	;; [unrolled: 1-line block ×3, first 2 shown]
	v_lshl_add_u32 v248, v126, 3, 0
	ds_load_2addr_b64 v[126:129], v195 offset0:93 offset1:148
	ds_load_2addr_b64 v[130:133], v193 offset0:21 offset1:76
	;; [unrolled: 1-line block ×4, first 2 shown]
	ds_load_2addr_b64 v[142:145], v190 offset1:110
	ds_load_2addr_b64 v[146:149], v192 offset0:167 offset1:222
	ds_load_2addr_b64 v[150:153], v196 offset0:75 offset1:130
	ds_load_2addr_b64 v[154:157], v197 offset0:113 offset1:168
	v_add_nc_u32_e32 v250, 0x1000, v178
	v_add_nc_u32_e32 v251, 0x1800, v247
	;; [unrolled: 1-line block ×3, first 2 shown]
	s_wait_loadcnt_dscnt 0xf0a
	v_mul_f64_e32 v[158:159], v[114:115], v[52:53]
	v_mul_f64_e32 v[160:161], v[116:117], v[52:53]
	;; [unrolled: 1-line block ×4, first 2 shown]
	s_wait_loadcnt_dscnt 0xe09
	v_mul_f64_e32 v[164:165], v[120:121], v[56:57]
	s_wait_loadcnt_dscnt 0xd08
	v_mul_f64_e32 v[168:169], v[122:123], v[60:61]
	;; [unrolled: 2-line block ×4, first 2 shown]
	s_wait_loadcnt 0xa
	v_mul_f64_e32 v[205:206], v[128:129], v[72:73]
	s_wait_loadcnt_dscnt 0x902
	v_mul_f64_e32 v[207:208], v[146:147], v[76:77]
	s_wait_loadcnt 0x8
	v_mul_f64_e32 v[209:210], v[136:137], v[80:81]
	v_mul_f64_e32 v[166:167], v[14:15], v[56:57]
	;; [unrolled: 1-line block ×10, first 2 shown]
	s_wait_loadcnt 0x7
	v_mul_f64_e32 v[211:212], v[140:141], v[84:85]
	s_wait_loadcnt_dscnt 0x601
	v_mul_f64_e32 v[213:214], v[150:151], v[88:89]
	s_wait_loadcnt 0x5
	v_mul_f64_e32 v[215:216], v[148:149], v[92:93]
	s_wait_loadcnt_dscnt 0x400
	v_mul_f64_e32 v[217:218], v[154:155], v[96:97]
	v_mul_f64_e32 v[68:69], v[42:43], v[68:69]
	;; [unrolled: 1-line block ×7, first 2 shown]
	s_wait_loadcnt 0x3
	v_mul_f64_e32 v[219:220], v[118:119], v[100:101]
	s_wait_loadcnt 0x2
	v_mul_f64_e32 v[221:222], v[152:153], v[104:105]
	v_mul_f64_e32 v[100:101], v[12:13], v[100:101]
	;; [unrolled: 1-line block ×5, first 2 shown]
	v_fma_f64 v[158:159], v[26:27], v[50:51], -v[158:159]
	v_fma_f64 v[160:161], v[28:29], v[50:51], -v[160:161]
	v_fma_f64 v[114:115], v[114:115], v[50:51], v[162:163]
	v_fma_f64 v[50:51], v[116:117], v[50:51], v[52:53]
	s_wait_loadcnt 0x1
	v_mul_f64_e32 v[52:53], v[130:131], v[108:109]
	v_fma_f64 v[14:15], v[14:15], v[54:55], -v[164:165]
	v_fma_f64 v[30:31], v[30:31], v[58:59], -v[168:169]
	v_fma_f64 v[10:11], v[10:11], v[62:63], -v[174:175]
	v_fma_f64 v[42:43], v[42:43], v[66:67], -v[203:204]
	v_fma_f64 v[36:37], v[36:37], v[70:71], -v[205:206]
	v_fma_f64 v[46:47], v[46:47], v[74:75], -v[207:208]
	v_fma_f64 v[40:41], v[40:41], v[78:79], -v[209:210]
	s_wait_loadcnt 0x0
	v_mul_f64_e32 v[116:117], v[156:157], v[112:113]
	v_mul_f64_e32 v[108:109], v[8:9], v[108:109]
	;; [unrolled: 1-line block ×3, first 2 shown]
	v_fma_f64 v[120:121], v[120:121], v[54:55], v[166:167]
	v_fma_f64 v[34:35], v[34:35], v[54:55], -v[172:173]
	v_fma_f64 v[54:55], v[126:127], v[54:55], v[56:57]
	v_fma_f64 v[126:127], v[132:133], v[62:63], v[182:183]
	;; [unrolled: 1-line block ×3, first 2 shown]
	v_fma_f64 v[32:33], v[32:33], v[58:59], -v[199:200]
	v_fma_f64 v[38:39], v[38:39], v[62:63], -v[201:202]
	v_fma_f64 v[58:59], v[124:125], v[58:59], v[60:61]
	v_fma_f64 v[60:61], v[134:135], v[62:63], v[64:65]
	v_fma_f64 v[44:45], v[44:45], v[82:83], -v[211:212]
	v_fma_f64 v[20:21], v[20:21], v[86:87], -v[213:214]
	;; [unrolled: 1-line block ×4, first 2 shown]
	v_fma_f64 v[62:63], v[138:139], v[66:67], v[68:69]
	v_fma_f64 v[64:65], v[128:129], v[70:71], v[72:73]
	;; [unrolled: 1-line block ×5, first 2 shown]
	v_fma_f64 v[12:13], v[12:13], v[98:99], -v[219:220]
	v_fma_f64 v[22:23], v[22:23], v[102:103], -v[221:222]
	v_fma_f64 v[68:69], v[136:137], v[78:79], v[80:81]
	v_fma_f64 v[78:79], v[118:119], v[98:99], v[100:101]
	;; [unrolled: 1-line block ×3, first 2 shown]
	ds_load_b64 v[56:57], v198
	ds_load_2addr_b64 v[26:29], v190 offset0:165 offset1:220
	v_fma_f64 v[74:75], v[148:149], v[90:91], v[92:93]
	v_fma_f64 v[80:81], v[152:153], v[102:103], v[104:105]
	v_fma_f64 v[8:9], v[8:9], v[106:107], -v[52:53]
	v_add_f64_e64 v[98:99], v[14:15], -v[158:159]
	v_add_f64_e32 v[86:87], v[14:15], v[30:31]
	v_add_f64_e32 v[96:97], v[158:159], v[10:11]
	v_add_f64_e64 v[100:101], v[30:31], -v[10:11]
	v_add_f64_e32 v[84:85], v[4:5], v[158:159]
	v_add_f64_e32 v[162:163], v[36:37], v[46:47]
	;; [unrolled: 1-line block ×3, first 2 shown]
	v_fma_f64 v[18:19], v[18:19], v[110:111], -v[116:117]
	v_fma_f64 v[52:53], v[130:131], v[106:107], v[108:109]
	v_fma_f64 v[82:83], v[156:157], v[110:111], v[112:113]
	v_add_f64_e32 v[102:103], v[142:143], v[114:115]
	v_add_f64_e64 v[110:111], v[114:115], -v[120:121]
	v_add_f64_e32 v[124:125], v[24:25], v[160:161]
	v_add_f64_e64 v[88:89], v[114:115], -v[126:127]
	;; [unrolled: 2-line block ×3, first 2 shown]
	v_add_f64_e64 v[118:119], v[122:123], -v[126:127]
	v_add_f64_e64 v[140:141], v[34:35], -v[160:161]
	;; [unrolled: 1-line block ×6, first 2 shown]
	v_add_f64_e32 v[104:105], v[120:121], v[122:123]
	v_add_f64_e32 v[128:129], v[34:35], v[32:33]
	v_add_f64_e64 v[134:135], v[160:161], -v[34:35]
	v_add_f64_e64 v[136:137], v[38:39], -v[32:33]
	v_add_f64_e32 v[138:139], v[160:161], v[38:39]
	v_add_f64_e32 v[168:169], v[6:7], v[42:43]
	v_add_f64_e64 v[106:107], v[158:159], -v[10:11]
	s_wait_dscnt 0x1
	v_add_f64_e32 v[148:149], v[56:57], v[50:51]
	v_add_f64_e64 v[156:157], v[50:51], -v[54:55]
	v_add_f64_e64 v[158:159], v[60:61], -v[58:59]
	v_add_f64_e32 v[150:151], v[54:55], v[58:59]
	v_add_f64_e64 v[152:153], v[160:161], -v[38:39]
	v_add_f64_e32 v[160:161], v[50:51], v[60:61]
	v_add_f64_e64 v[174:175], v[42:43], -v[36:37]
	v_add_f64_e64 v[182:183], v[40:41], -v[46:47]
	;; [unrolled: 1-line block ×4, first 2 shown]
	v_add_f64_e32 v[217:218], v[0:1], v[44:45]
	v_add_f64_e32 v[219:220], v[20:21], v[48:49]
	;; [unrolled: 1-line block ×5, first 2 shown]
	v_fma_f64 v[86:87], v[86:87], -0.5, v[4:5]
	v_fma_f64 v[4:5], v[96:97], -0.5, v[4:5]
	;; [unrolled: 1-line block ×4, first 2 shown]
	v_add_f64_e32 v[162:163], v[2:3], v[12:13]
	v_add_f64_e32 v[164:165], v[22:23], v[8:9]
	v_add_f64_e64 v[130:131], v[50:51], -v[60:61]
	v_add_f64_e64 v[50:51], v[54:55], -v[50:51]
	;; [unrolled: 1-line block ×3, first 2 shown]
	v_add_f64_e32 v[98:99], v[98:99], v[100:101]
	v_add_f64_e32 v[100:101], v[12:13], v[18:19]
	s_wait_dscnt 0x0
	v_add_f64_e32 v[235:236], v[26:27], v[70:71]
	v_add_f64_e32 v[213:214], v[62:63], v[68:69]
	v_add_f64_e64 v[108:109], v[14:15], -v[30:31]
	v_add_f64_e64 v[154:155], v[34:35], -v[32:33]
	;; [unrolled: 1-line block ×4, first 2 shown]
	v_add_f64_e32 v[237:238], v[72:73], v[74:75]
	v_add_f64_e32 v[243:244], v[70:71], v[76:77]
	;; [unrolled: 1-line block ×9, first 2 shown]
	v_add_f64_e64 v[90:91], v[120:121], -v[122:123]
	v_add_f64_e64 v[84:85], v[12:13], -v[22:23]
	v_add_f64_e32 v[92:93], v[92:93], v[94:95]
	v_add_f64_e64 v[94:95], v[18:19], -v[8:9]
	v_add_f64_e32 v[102:103], v[102:103], v[120:121]
	;; [unrolled: 2-line block ×3, first 2 shown]
	v_add_f64_e64 v[112:113], v[8:9], -v[18:19]
	v_add_f64_e64 v[132:133], v[54:55], -v[58:59]
	v_add_f64_e32 v[134:135], v[134:135], v[136:137]
	v_add_f64_e64 v[136:137], v[78:79], -v[80:81]
	v_fma_f64 v[128:129], v[128:129], -0.5, v[24:25]
	v_fma_f64 v[24:25], v[138:139], -0.5, v[24:25]
	v_add_f64_e64 v[138:139], v[82:83], -v[52:53]
	v_fma_f64 v[104:105], v[104:105], -0.5, v[142:143]
	v_add_f64_e64 v[170:171], v[62:63], -v[68:69]
	v_add_f64_e64 v[207:208], v[36:37], -v[46:47]
	v_add_f64_e32 v[36:37], v[168:169], v[36:37]
	v_add_f64_e64 v[172:173], v[64:65], -v[66:67]
	v_add_f64_e32 v[54:55], v[148:149], v[54:55]
	;; [unrolled: 2-line block ×3, first 2 shown]
	v_add_f64_e64 v[158:159], v[52:53], -v[82:83]
	v_fma_f64 v[116:117], v[116:117], -0.5, v[142:143]
	v_add_f64_e64 v[221:222], v[70:71], -v[76:77]
	v_add_f64_e64 v[225:226], v[44:45], -v[20:21]
	;; [unrolled: 1-line block ×3, first 2 shown]
	v_fma_f64 v[150:151], v[150:151], -0.5, v[56:57]
	v_fma_f64 v[56:57], v[160:161], -0.5, v[56:57]
	v_add_f64_e64 v[160:161], v[20:21], -v[48:49]
	v_add_f64_e32 v[168:169], v[174:175], v[182:183]
	v_add_f64_e32 v[174:175], v[199:200], v[201:202]
	;; [unrolled: 1-line block ×3, first 2 shown]
	v_fma_f64 v[201:202], v[219:220], -0.5, v[0:1]
	v_add_f64_e64 v[223:224], v[72:73], -v[74:75]
	v_fma_f64 v[0:1], v[229:230], -0.5, v[0:1]
	v_add_f64_e64 v[42:43], v[42:43], -v[40:41]
	v_add_f64_e64 v[62:63], v[64:65], -v[62:63]
	;; [unrolled: 1-line block ×4, first 2 shown]
	v_add_f64_e32 v[64:65], v[203:204], v[64:65]
	v_fma_f64 v[182:183], v[205:206], -0.5, v[144:145]
	v_add_f64_e32 v[22:23], v[162:163], v[22:23]
	v_fma_f64 v[162:163], v[164:165], -0.5, v[2:3]
	v_add_f64_e32 v[50:51], v[50:51], v[166:167]
	v_add_f64_e64 v[166:167], v[80:81], -v[52:53]
	v_fma_f64 v[2:3], v[100:101], -0.5, v[2:3]
	v_add_f64_e64 v[239:240], v[70:71], -v[72:73]
	v_add_f64_e64 v[70:71], v[72:73], -v[70:71]
	v_add_f64_e32 v[72:73], v[235:236], v[72:73]
	v_fma_f64 v[144:145], v[213:214], -0.5, v[144:145]
	v_add_f64_e64 v[215:216], v[66:67], -v[68:69]
	v_add_f64_e64 v[44:45], v[44:45], -v[16:17]
	;; [unrolled: 1-line block ×3, first 2 shown]
	v_add_f64_e32 v[199:200], v[209:210], v[211:212]
	v_fma_f64 v[209:210], v[237:238], -0.5, v[26:27]
	v_fma_f64 v[26:27], v[243:244], -0.5, v[26:27]
	v_add_f64_e32 v[80:81], v[118:119], v[80:81]
	v_fma_f64 v[100:101], v[124:125], -0.5, v[28:29]
	v_fma_f64 v[28:29], v[146:147], -0.5, v[28:29]
	v_add_f64_e32 v[14:15], v[14:15], v[30:31]
	v_fma_f64 v[30:31], v[88:89], s[12:13], v[86:87]
	v_add_f64_e32 v[84:85], v[84:85], v[94:95]
	v_add_f64_e32 v[94:95], v[120:121], v[112:113]
	v_fma_f64 v[86:87], v[88:89], s[16:17], v[86:87]
	v_fma_f64 v[120:121], v[90:91], s[16:17], v[4:5]
	;; [unrolled: 1-line block ×3, first 2 shown]
	v_add_f64_e32 v[112:113], v[136:137], v[138:139]
	v_add_f64_e32 v[102:103], v[102:103], v[122:123]
	v_fma_f64 v[122:123], v[106:107], s[16:17], v[104:105]
	v_fma_f64 v[104:105], v[106:107], s[12:13], v[104:105]
	v_add_f64_e32 v[32:33], v[34:35], v[32:33]
	v_fma_f64 v[34:35], v[130:131], s[12:13], v[128:129]
	v_fma_f64 v[136:137], v[132:133], s[16:17], v[24:25]
	;; [unrolled: 1-line block ×4, first 2 shown]
	v_add_f64_e32 v[36:37], v[36:37], v[46:47]
	v_fma_f64 v[46:47], v[170:171], s[12:13], v[96:97]
	v_add_f64_e32 v[118:119], v[148:149], v[158:159]
	v_fma_f64 v[124:125], v[108:109], s[12:13], v[116:117]
	v_fma_f64 v[116:117], v[108:109], s[16:17], v[116:117]
	;; [unrolled: 1-line block ×4, first 2 shown]
	v_add_f64_e64 v[227:228], v[16:17], -v[48:49]
	v_add_f64_e64 v[233:234], v[48:49], -v[16:17]
	v_add_f64_e32 v[20:21], v[20:21], v[48:49]
	v_fma_f64 v[48:49], v[221:222], s[12:13], v[201:202]
	v_fma_f64 v[164:165], v[223:224], s[16:17], v[0:1]
	;; [unrolled: 1-line block ×3, first 2 shown]
	v_add_f64_e32 v[54:55], v[54:55], v[58:59]
	v_fma_f64 v[58:59], v[152:153], s[16:17], v[150:151]
	v_fma_f64 v[138:139], v[152:153], s[12:13], v[150:151]
	v_add_f64_e32 v[64:65], v[64:65], v[66:67]
	v_fma_f64 v[66:67], v[42:43], s[16:17], v[182:183]
	v_fma_f64 v[150:151], v[42:43], s[12:13], v[182:183]
	;; [unrolled: 1-line block ×7, first 2 shown]
	v_add_f64_e64 v[241:242], v[76:77], -v[74:75]
	v_add_f64_e64 v[245:246], v[74:75], -v[76:77]
	v_add_f64_e32 v[72:73], v[72:73], v[74:75]
	v_fma_f64 v[74:75], v[78:79], s[16:17], v[162:163]
	v_fma_f64 v[146:147], v[154:155], s[12:13], v[56:57]
	;; [unrolled: 1-line block ×5, first 2 shown]
	v_add_f64_e32 v[62:63], v[62:63], v[215:216]
	v_fma_f64 v[162:163], v[44:45], s[16:17], v[209:210]
	v_fma_f64 v[215:216], v[160:161], s[12:13], v[26:27]
	;; [unrolled: 1-line block ×3, first 2 shown]
	v_add_f64_e32 v[8:9], v[22:23], v[8:9]
	v_add_f64_e32 v[22:23], v[80:81], v[52:53]
	v_fma_f64 v[52:53], v[12:13], s[16:17], v[100:101]
	v_fma_f64 v[80:81], v[12:13], s[12:13], v[100:101]
	v_fma_f64 v[100:101], v[142:143], s[12:13], v[28:29]
	v_fma_f64 v[28:29], v[142:143], s[16:17], v[28:29]
	v_add_f64_e32 v[10:11], v[14:15], v[10:11]
	v_fma_f64 v[14:15], v[90:91], s[6:7], v[30:31]
	v_fma_f64 v[30:31], v[90:91], s[14:15], v[86:87]
	v_fma_f64 v[86:87], v[88:89], s[6:7], v[120:121]
	v_fma_f64 v[4:5], v[88:89], s[14:15], v[4:5]
	;; [unrolled: 5-line block ×4, first 2 shown]
	v_fma_f64 v[104:105], v[106:107], s[14:15], v[124:125]
	v_fma_f64 v[106:107], v[106:107], s[6:7], v[116:117]
	;; [unrolled: 1-line block ×4, first 2 shown]
	v_add_f64_e32 v[203:204], v[225:226], v[227:228]
	v_fma_f64 v[48:49], v[223:224], s[6:7], v[48:49]
	v_add_f64_e32 v[205:206], v[231:232], v[233:234]
	v_fma_f64 v[120:121], v[221:222], s[6:7], v[164:165]
	v_fma_f64 v[0:1], v[221:222], s[14:15], v[0:1]
	v_fma_f64 v[122:123], v[166:167], s[6:7], v[182:183]
	v_fma_f64 v[124:125], v[78:79], s[6:7], v[213:214]
	v_fma_f64 v[2:3], v[78:79], s[14:15], v[2:3]
	v_fma_f64 v[78:79], v[172:173], s[14:15], v[96:97]
	v_fma_f64 v[96:97], v[223:224], s[14:15], v[201:202]
	v_fma_f64 v[74:75], v[166:167], s[14:15], v[74:75]
	v_fma_f64 v[58:59], v[154:155], s[14:15], v[58:59]
	v_fma_f64 v[128:129], v[152:153], s[14:15], v[146:147]
	v_fma_f64 v[126:127], v[154:155], s[6:7], v[138:139]
	v_fma_f64 v[56:57], v[152:153], s[6:7], v[56:57]
	v_add_f64_e32 v[36:37], v[36:37], v[40:41]
	v_fma_f64 v[40:41], v[207:208], s[14:15], v[66:67]
	v_fma_f64 v[130:131], v[42:43], s[14:15], v[158:159]
	;; [unrolled: 1-line block ×3, first 2 shown]
	v_add_f64_e32 v[211:212], v[239:240], v[241:242]
	v_add_f64_e32 v[70:71], v[70:71], v[245:246]
	;; [unrolled: 1-line block ×3, first 2 shown]
	v_fma_f64 v[20:21], v[160:161], s[14:15], v[162:163]
	v_fma_f64 v[136:137], v[44:45], s[14:15], v[215:216]
	;; [unrolled: 1-line block ×3, first 2 shown]
	v_add_f64_e32 v[8:9], v[8:9], v[18:19]
	v_fma_f64 v[18:19], v[142:143], s[14:15], v[52:53]
	v_fma_f64 v[44:45], v[142:143], s[6:7], v[80:81]
	;; [unrolled: 1-line block ×26, first 2 shown]
	v_add_f64_e32 v[54:55], v[54:55], v[60:61]
	v_add_f64_e32 v[60:61], v[64:65], v[68:69]
	v_add_f64_e32 v[64:65], v[72:73], v[76:77]
	v_fma_f64 v[72:73], v[110:111], s[2:3], v[90:91]
	v_add_f64_e32 v[68:69], v[22:23], v[82:83]
	v_fma_f64 v[82:83], v[114:115], s[2:3], v[104:105]
	v_fma_f64 v[84:85], v[114:115], s[2:3], v[106:107]
	;; [unrolled: 1-line block ×10, first 2 shown]
	global_wb scope:SCOPE_SE
	s_barrier_signal -1
	s_barrier_wait -1
	global_inv scope:SCOPE_SE
	v_fma_f64 v[104:105], v[211:212], s[2:3], v[20:21]
	v_fma_f64 v[108:109], v[70:71], s[2:3], v[136:137]
	;; [unrolled: 1-line block ×6, first 2 shown]
	ds_store_2addr_b64 v190, v[10:11], v[14:15] offset1:55
	ds_store_2addr_b64 v190, v[30:31], v[4:5] offset0:110 offset1:165
	ds_store_2addr_b64 v249, v[28:29], v[32:33] offset0:92 offset1:147
	;; [unrolled: 1-line block ×10, first 2 shown]
	ds_store_b64 v178, v[78:79] offset:6160
	ds_store_b64 v247, v[94:95] offset:8360
	;; [unrolled: 1-line block ×3, first 2 shown]
	global_wb scope:SCOPE_SE
	s_wait_dscnt 0x0
	s_barrier_signal -1
	s_barrier_wait -1
	global_inv scope:SCOPE_SE
	ds_load_2addr_b64 v[0:3], v190 offset1:110
	ds_load_2addr_b64 v[12:15], v191 offset0:19 offset1:74
	ds_load_2addr_b64 v[44:47], v194 offset0:111 offset1:166
	;; [unrolled: 1-line block ×4, first 2 shown]
	ds_load_b64 v[136:137], v198
	ds_load_2addr_b64 v[16:19], v195 offset0:93 offset1:148
	ds_load_2addr_b64 v[20:23], v193 offset0:131 offset1:186
	;; [unrolled: 1-line block ×7, first 2 shown]
	v_fma_f64 v[52:53], v[118:119], s[2:3], v[52:53]
	v_fma_f64 v[66:67], v[199:200], s[2:3], v[66:67]
	;; [unrolled: 1-line block ×3, first 2 shown]
	global_wb scope:SCOPE_SE
	s_wait_dscnt 0x0
	s_barrier_signal -1
	s_barrier_wait -1
	global_inv scope:SCOPE_SE
	ds_store_2addr_b64 v190, v[88:89], v[72:73] offset1:55
	ds_store_2addr_b64 v190, v[82:83], v[84:85] offset0:110 offset1:165
	ds_store_2addr_b64 v249, v[76:77], v[54:55] offset0:92 offset1:147
	;; [unrolled: 1-line block ×10, first 2 shown]
	ds_store_b64 v178, v[66:67] offset:6160
	ds_store_b64 v247, v[106:107] offset:8360
	;; [unrolled: 1-line block ×3, first 2 shown]
	global_wb scope:SCOPE_SE
	s_wait_dscnt 0x0
	s_barrier_signal -1
	s_barrier_wait -1
	global_inv scope:SCOPE_SE
	s_and_saveexec_b32 s0, vcc_lo
	s_cbranch_execz .LBB0_21
; %bb.20:
	v_mad_co_u64_u32 v[192:193], null, s8, v185, 0
	v_lshlrev_b32_e32 v178, 2, v187
	global_load_b128 v[132:135], v[180:181], off offset:4240
	v_mad_co_u64_u32 v[194:195], null, s8, v188, 0
	v_add_nc_u32_e32 v228, 0x339, v184
	v_lshlrev_b64_e32 v[48:49], 4, v[178:179]
	v_lshlrev_b32_e32 v178, 2, v189
	v_add_nc_u32_e32 v232, 0x370, v184
	v_add_nc_u32_e32 v236, 0x3a7, v184
	v_mad_co_u64_u32 v[200:201], null, s8, v228, 0
	v_add_co_u32 v48, vcc_lo, s4, v48
	s_wait_alu 0xfffd
	v_add_co_ci_u32_e32 v49, vcc_lo, s5, v49, vcc_lo
	v_lshlrev_b64_e32 v[50:51], 4, v[178:179]
	s_clause 0x6
	global_load_b128 v[128:131], v[48:49], off offset:4224
	global_load_b128 v[124:127], v[180:181], off offset:4272
	global_load_b128 v[120:123], v[48:49], off offset:4256
	global_load_b128 v[116:119], v[180:181], off offset:4224
	global_load_b128 v[108:111], v[180:181], off offset:4256
	global_load_b128 v[104:107], v[48:49], off offset:4240
	global_load_b128 v[112:115], v[48:49], off offset:4272
	v_add_co_u32 v48, vcc_lo, s4, v50
	s_wait_alu 0xfffd
	v_add_co_ci_u32_e32 v49, vcc_lo, s5, v51, vcc_lo
	v_lshlrev_b32_e32 v178, 2, v188
	v_add_nc_u32_e32 v229, 0x44c, v184
	v_add_nc_u32_e32 v230, 0x14a, v184
	s_clause 0x3
	global_load_b128 v[64:67], v[48:49], off offset:4240
	global_load_b128 v[100:103], v[48:49], off offset:4224
	;; [unrolled: 1-line block ×4, first 2 shown]
	v_lshlrev_b64_e32 v[50:51], 4, v[178:179]
	v_lshlrev_b32_e32 v178, 2, v186
	v_add_nc_u32_e32 v234, 0x181, v184
	v_add_nc_u32_e32 v237, 0x4ba, v184
	v_mad_co_u64_u32 v[208:209], null, s8, v232, 0
	v_add_co_u32 v48, vcc_lo, s4, v50
	s_wait_alu 0xfffd
	v_add_co_ci_u32_e32 v49, vcc_lo, s5, v51, vcc_lo
	v_lshlrev_b64_e32 v[50:51], 4, v[178:179]
	s_clause 0x3
	global_load_b128 v[68:71], v[48:49], off offset:4240
	global_load_b128 v[92:95], v[48:49], off offset:4224
	;; [unrolled: 1-line block ×4, first 2 shown]
	v_add_nc_u32_e32 v231, 0x25d, v184
	v_mad_co_u64_u32 v[216:217], null, s8, v236, 0
	v_add_co_u32 v48, vcc_lo, s4, v50
	s_wait_alu 0xfffd
	v_add_co_ci_u32_e32 v49, vcc_lo, s5, v51, vcc_lo
	s_clause 0x3
	global_load_b128 v[56:59], v[48:49], off offset:4240
	global_load_b128 v[72:75], v[48:49], off offset:4224
	;; [unrolled: 1-line block ×4, first 2 shown]
	v_add_nc_u32_e32 v235, 0x294, v184
	ds_load_2addr_b64 v[52:55], v190 offset0:165 offset1:220
	v_add_nc_u32_e32 v168, 0x1000, v190
	ds_load_2addr_b64 v[48:51], v190 offset1:110
	ds_load_b64 v[138:139], v198
	v_mad_co_u64_u32 v[202:203], null, s8, v229, 0
	v_add_nc_u32_e32 v144, 0x1400, v190
	v_mad_co_u64_u32 v[204:205], null, s8, v230, 0
	v_add_nc_u32_e32 v148, 0xc00, v190
	;; [unrolled: 2-line block ×7, first 2 shown]
	v_add_nc_u32_e32 v233, 0x483, v184
	v_add_co_u32 v142, vcc_lo, s10, v176
	s_wait_alu 0xfffd
	v_add_co_ci_u32_e32 v143, vcc_lo, s11, v177, vcc_lo
	v_dual_mov_b32 v186, v191 :: v_dual_mov_b32 v191, v193
	v_mad_co_u64_u32 v[198:199], null, s8, v227, 0
	v_mov_b32_e32 v193, v195
	s_delay_alu instid0(VALU_DEP_3) | instskip(NEXT) | instid1(VALU_DEP_4)
	v_mad_co_u64_u32 v[222:223], null, s9, v184, v[186:187]
	v_mad_co_u64_u32 v[223:224], null, s9, v185, v[191:192]
	v_add_nc_u32_e32 v226, 0x113, v184
	v_mad_co_u64_u32 v[210:211], null, s8, v233, 0
	v_mov_b32_e32 v195, v199
	v_mad_co_u64_u32 v[224:225], null, s9, v188, v[193:194]
	s_delay_alu instid0(VALU_DEP_4)
	v_mad_co_u64_u32 v[196:197], null, s8, v226, 0
	v_mov_b32_e32 v199, v203
	v_mov_b32_e32 v185, v205
	v_dual_mov_b32 v191, v207 :: v_dual_mov_b32 v188, v209
	v_mov_b32_e32 v193, v213
	v_mad_co_u64_u32 v[140:141], null, s8, v189, 0
	v_dual_mov_b32 v186, v197 :: v_dual_mov_b32 v197, v201
	s_delay_alu instid0(VALU_DEP_1) | instskip(SKIP_2) | instid1(VALU_DEP_4)
	v_mad_co_u64_u32 v[225:226], null, s9, v226, v[186:187]
	v_mad_co_u64_u32 v[226:227], null, s9, v227, v[195:196]
	v_dual_mov_b32 v186, v211 :: v_dual_mov_b32 v195, v224
	v_mad_co_u64_u32 v[227:228], null, s9, v228, v[197:198]
	v_mad_co_u64_u32 v[228:229], null, s9, v229, v[199:200]
	v_mov_b32_e32 v197, v225
	s_delay_alu instid0(VALU_DEP_4)
	v_mad_co_u64_u32 v[229:230], null, s9, v230, v[185:186]
	v_mad_co_u64_u32 v[230:231], null, s9, v231, v[191:192]
	v_mov_b32_e32 v199, v226
	v_mad_co_u64_u32 v[231:232], null, s9, v232, v[188:189]
	v_mov_b32_e32 v185, v215
	v_mad_co_u64_u32 v[232:233], null, s9, v233, v[186:187]
	v_dual_mov_b32 v186, v217 :: v_dual_mov_b32 v201, v227
	v_mad_co_u64_u32 v[233:234], null, s9, v234, v[193:194]
	v_mov_b32_e32 v193, v223
	s_delay_alu instid0(VALU_DEP_3)
	v_mad_co_u64_u32 v[234:235], null, s9, v235, v[185:186]
	v_mov_b32_e32 v185, v219
	v_mov_b32_e32 v191, v222
	ds_load_2addr_b64 v[144:147], v144 offset0:75 offset1:130
	ds_load_2addr_b64 v[148:151], v148 offset0:111 offset1:166
	;; [unrolled: 1-line block ×10, first 2 shown]
	v_mov_b32_e32 v203, v228
	v_mad_co_u64_u32 v[235:236], null, s9, v236, v[186:187]
	v_mad_co_u64_u32 v[185:186], null, s9, v237, v[185:186]
	v_dual_mov_b32 v205, v229 :: v_dual_add_nc_u32 v252, 0x1b8, v184
	v_mov_b32_e32 v207, v230
	v_mov_b32_e32 v209, v231
	;; [unrolled: 1-line block ×6, first 2 shown]
	v_lshlrev_b64_e32 v[185:186], 4, v[196:197]
	v_lshlrev_b64_e32 v[196:197], 4, v[198:199]
	v_lshlrev_b64_e32 v[198:199], 4, v[200:201]
	v_lshlrev_b64_e32 v[200:201], 4, v[202:203]
	v_lshlrev_b64_e32 v[202:203], 4, v[204:205]
	v_lshlrev_b64_e32 v[204:205], 4, v[206:207]
	v_lshlrev_b64_e32 v[206:207], 4, v[208:209]
	v_lshlrev_b64_e32 v[208:209], 4, v[210:211]
	v_lshlrev_b64_e32 v[210:211], 4, v[212:213]
	v_lshlrev_b64_e32 v[212:213], 4, v[214:215]
	v_lshlrev_b64_e32 v[190:191], 4, v[190:191]
	v_lshlrev_b64_e32 v[192:193], 4, v[192:193]
	v_lshlrev_b64_e32 v[194:195], 4, v[194:195]
	v_mov_b32_e32 v217, v235
	v_mad_co_u64_u32 v[220:221], null, s8, v252, 0
	v_add_co_u32 v190, vcc_lo, v142, v190
	s_wait_alu 0xfffd
	v_add_co_ci_u32_e32 v191, vcc_lo, v143, v191, vcc_lo
	v_add_co_u32 v192, vcc_lo, v142, v192
	s_wait_alu 0xfffd
	v_add_co_ci_u32_e32 v193, vcc_lo, v143, v193, vcc_lo
	;; [unrolled: 3-line block ×9, first 2 shown]
	s_wait_loadcnt 0x13
	v_mul_f64_e32 v[214:215], v[46:47], v[134:135]
	s_wait_dscnt 0x8
	v_mul_f64_e32 v[134:135], v[150:151], v[134:135]
	s_wait_loadcnt 0x12
	v_mul_f64_e32 v[222:223], v[44:45], v[130:131]
	v_mul_f64_e32 v[130:131], v[148:149], v[130:131]
	s_wait_loadcnt 0x11
	v_mul_f64_e32 v[224:225], v[42:43], v[126:127]
	s_wait_dscnt 0x7
	v_mul_f64_e32 v[126:127], v[154:155], v[126:127]
	s_wait_loadcnt 0x10
	v_mul_f64_e32 v[226:227], v[40:41], v[122:123]
	v_mul_f64_e32 v[122:123], v[152:153], v[122:123]
	s_wait_loadcnt 0xf
	v_mul_f64_e32 v[228:229], v[12:13], v[118:119]
	s_wait_dscnt 0x1
	v_mul_f64_e32 v[118:119], v[176:177], v[118:119]
	s_wait_loadcnt 0xe
	v_mul_f64_e32 v[230:231], v[8:9], v[110:111]
	s_wait_dscnt 0x0
	v_mul_f64_e32 v[110:111], v[180:181], v[110:111]
	s_wait_loadcnt 0xd
	v_mul_f64_e32 v[232:233], v[34:35], v[106:107]
	s_wait_loadcnt 0xc
	v_mul_f64_e32 v[234:235], v[38:39], v[114:115]
	v_mul_f64_e32 v[114:115], v[158:159], v[114:115]
	;; [unrolled: 1-line block ×3, first 2 shown]
	v_fma_f64 v[150:151], v[150:151], v[132:133], v[214:215]
	v_fma_f64 v[46:47], v[46:47], v[132:133], -v[134:135]
	v_add_co_u32 v132, vcc_lo, v142, v206
	s_wait_alu 0xfffd
	v_add_co_ci_u32_e32 v133, vcc_lo, v143, v207, vcc_lo
	s_wait_loadcnt 0xb
	v_mul_f64_e32 v[134:135], v[32:33], v[66:67]
	v_lshlrev_b64_e32 v[206:207], 4, v[216:217]
	s_wait_loadcnt 0xa
	v_mul_f64_e32 v[214:215], v[30:31], v[102:103]
	s_wait_loadcnt 0x8
	v_mul_f64_e32 v[216:217], v[26:27], v[86:87]
	v_mul_f64_e32 v[102:103], v[162:163], v[102:103]
	;; [unrolled: 1-line block ×4, first 2 shown]
	v_fma_f64 v[148:149], v[148:149], v[128:129], v[222:223]
	v_fma_f64 v[44:45], v[44:45], v[128:129], -v[130:131]
	v_mul_f64_e32 v[128:129], v[36:37], v[98:99]
	v_mul_f64_e32 v[98:99], v[156:157], v[98:99]
	v_fma_f64 v[42:43], v[42:43], v[124:125], -v[126:127]
	v_fma_f64 v[126:127], v[152:153], v[120:121], v[226:227]
	s_wait_loadcnt 0x6
	v_mul_f64_e32 v[152:153], v[28:29], v[94:95]
	v_fma_f64 v[40:41], v[40:41], v[120:121], -v[122:123]
	s_wait_loadcnt 0x5
	v_mul_f64_e32 v[120:121], v[22:23], v[90:91]
	v_fma_f64 v[130:131], v[154:155], v[124:125], v[224:225]
	v_mul_f64_e32 v[124:125], v[18:19], v[70:71]
	s_wait_loadcnt 0x4
	v_mul_f64_e32 v[154:155], v[24:25], v[78:79]
	v_mul_f64_e32 v[70:71], v[170:171], v[70:71]
	v_fma_f64 v[122:123], v[176:177], v[116:117], v[228:229]
	v_fma_f64 v[12:13], v[12:13], v[116:117], -v[118:119]
	v_mul_f64_e32 v[78:79], v[164:165], v[78:79]
	s_wait_loadcnt 0x3
	v_mul_f64_e32 v[116:117], v[16:17], v[58:59]
	v_fma_f64 v[118:119], v[180:181], v[108:109], v[230:231]
	v_fma_f64 v[8:9], v[8:9], v[108:109], -v[110:111]
	s_wait_loadcnt 0x2
	v_mul_f64_e32 v[108:109], v[14:15], v[74:75]
	s_wait_loadcnt 0x1
	v_mul_f64_e32 v[110:111], v[10:11], v[62:63]
	v_fma_f64 v[158:159], v[158:159], v[112:113], v[234:235]
	v_fma_f64 v[112:113], v[38:39], v[112:113], -v[114:115]
	s_wait_loadcnt 0x0
	v_mul_f64_e32 v[38:39], v[20:21], v[82:83]
	v_mul_f64_e32 v[74:75], v[178:179], v[74:75]
	v_fma_f64 v[34:35], v[34:35], v[104:105], -v[106:107]
	v_mul_f64_e32 v[58:59], v[168:169], v[58:59]
	v_mul_f64_e32 v[62:63], v[182:183], v[62:63]
	;; [unrolled: 1-line block ×5, first 2 shown]
	v_fma_f64 v[114:115], v[146:147], v[104:105], v[232:233]
	v_fma_f64 v[162:163], v[162:163], v[100:101], v[214:215]
	v_fma_f64 v[104:105], v[144:145], v[64:65], v[134:135]
	v_fma_f64 v[30:31], v[30:31], v[100:101], -v[102:103]
	v_fma_f64 v[32:33], v[32:33], v[64:65], -v[66:67]
	;; [unrolled: 1-line block ×3, first 2 shown]
	v_fma_f64 v[166:167], v[166:167], v[84:85], v[216:217]
	v_add_co_u32 v106, vcc_lo, v142, v208
	v_fma_f64 v[128:129], v[156:157], v[96:97], v[128:129]
	v_fma_f64 v[96:97], v[36:37], v[96:97], -v[98:99]
	s_wait_alu 0xfffd
	v_add_co_ci_u32_e32 v107, vcc_lo, v143, v209, vcc_lo
	v_fma_f64 v[64:65], v[160:161], v[92:93], v[152:153]
	v_add_co_u32 v134, vcc_lo, v142, v210
	v_fma_f64 v[84:85], v[174:175], v[88:89], v[120:121]
	v_fma_f64 v[36:37], v[170:171], v[68:69], v[124:125]
	;; [unrolled: 1-line block ×3, first 2 shown]
	v_fma_f64 v[18:19], v[18:19], v[68:69], -v[70:71]
	v_add_f64_e32 v[174:175], v[148:149], v[54:55]
	v_add_f64_e64 v[98:99], v[12:13], -v[46:47]
	v_fma_f64 v[24:25], v[24:25], v[76:77], -v[78:79]
	v_fma_f64 v[68:69], v[168:169], v[56:57], v[116:117]
	v_add_f64_e64 v[78:79], v[130:131], -v[118:119]
	v_add_f64_e64 v[100:101], v[42:43], -v[8:9]
	v_fma_f64 v[70:71], v[178:179], v[72:73], v[108:109]
	v_fma_f64 v[76:77], v[182:183], v[60:61], v[110:111]
	v_add_f64_e32 v[116:117], v[148:149], v[158:159]
	v_add_f64_e64 v[182:183], v[40:41], -v[112:113]
	v_fma_f64 v[38:39], v[172:173], v[80:81], v[38:39]
	v_fma_f64 v[14:15], v[14:15], v[72:73], -v[74:75]
	v_add_f64_e64 v[74:75], v[122:123], -v[150:151]
	v_fma_f64 v[16:17], v[16:17], v[56:57], -v[58:59]
	v_fma_f64 v[10:11], v[10:11], v[60:61], -v[62:63]
	v_add_f64_e64 v[176:177], v[34:35], -v[44:45]
	v_fma_f64 v[20:21], v[20:21], v[80:81], -v[82:83]
	v_fma_f64 v[28:29], v[28:29], v[92:93], -v[94:95]
	;; [unrolled: 1-line block ×3, first 2 shown]
	v_add_f64_e64 v[56:57], v[150:151], -v[122:123]
	v_add_f64_e32 v[62:63], v[122:123], v[130:131]
	v_add_f64_e32 v[82:83], v[122:123], v[48:49]
	v_add_f64_e64 v[94:95], v[122:123], -v[130:131]
	v_add_f64_e32 v[120:121], v[114:115], v[126:127]
	v_add_f64_e32 v[156:157], v[44:45], v[112:113]
	;; [unrolled: 1-line block ×6, first 2 shown]
	s_wait_alu 0xfffd
	v_add_co_ci_u32_e32 v135, vcc_lo, v143, v211, vcc_lo
	v_add_co_u32 v144, vcc_lo, v142, v212
	v_add_f64_e64 v[60:61], v[12:13], -v[42:43]
	v_add_f64_e32 v[80:81], v[150:151], v[118:119]
	v_add_f64_e64 v[86:87], v[46:47], -v[12:13]
	v_add_f64_e64 v[88:89], v[8:9], -v[42:43]
	v_add_f64_e32 v[92:93], v[12:13], v[42:43]
	v_add_f64_e32 v[102:103], v[46:47], v[8:9]
	;; [unrolled: 1-line block ×5, first 2 shown]
	s_wait_alu 0xfffd
	v_add_co_ci_u32_e32 v145, vcc_lo, v143, v213, vcc_lo
	v_add_f64_e64 v[108:109], v[114:115], -v[148:149]
	v_add_f64_e64 v[110:111], v[126:127], -v[158:159]
	;; [unrolled: 1-line block ×6, first 2 shown]
	v_add_co_u32 v146, vcc_lo, v142, v206
	v_add_f64_e64 v[152:153], v[44:45], -v[112:113]
	v_add_f64_e32 v[180:181], v[36:37], v[66:67]
	v_add_f64_e64 v[208:209], v[44:45], -v[34:35]
	v_add_f64_e64 v[210:211], v[112:113], -v[40:41]
	v_add_f64_e32 v[44:45], v[6:7], v[44:45]
	v_add_f64_e64 v[226:227], v[32:33], -v[30:31]
	v_add_f64_e64 v[228:229], v[26:27], -v[96:97]
	;; [unrolled: 1-line block ×4, first 2 shown]
	v_add_f64_e32 v[74:75], v[74:75], v[78:79]
	v_add_f64_e32 v[78:79], v[70:71], v[38:39]
	v_add_f64_e32 v[98:99], v[98:99], v[100:101]
	v_add_f64_e32 v[100:101], v[68:69], v[76:77]
	v_add_f64_e32 v[176:177], v[176:177], v[182:183]
	v_add_f64_e32 v[182:183], v[16:17], v[10:11]
	s_wait_alu 0xfffd
	v_add_co_ci_u32_e32 v147, vcc_lo, v143, v207, vcc_lo
	v_add_f64_e64 v[206:207], v[114:115], -v[126:127]
	v_add_f64_e64 v[216:217], v[162:163], -v[104:105]
	;; [unrolled: 1-line block ×3, first 2 shown]
	v_add_f64_e32 v[224:225], v[162:163], v[52:53]
	v_add_f64_e32 v[234:235], v[4:5], v[30:31]
	v_add_f64_e64 v[236:237], v[36:37], -v[64:65]
	v_add_f64_e64 v[238:239], v[66:67], -v[84:85]
	v_add_f64_e32 v[114:115], v[114:115], v[174:175]
	v_add_f64_e32 v[174:175], v[14:15], v[20:21]
	v_fma_f64 v[116:117], v[116:117], -0.5, v[54:55]
	v_fma_f64 v[54:55], v[120:121], -0.5, v[54:55]
	;; [unrolled: 1-line block ×3, first 2 shown]
	v_add_f64_e32 v[122:123], v[28:29], v[22:23]
	v_fma_f64 v[156:157], v[156:157], -0.5, v[6:7]
	v_fma_f64 v[6:7], v[160:161], -0.5, v[6:7]
	;; [unrolled: 1-line block ×4, first 2 shown]
	v_add_f64_e32 v[168:169], v[18:19], v[24:25]
	v_add_f64_e32 v[244:245], v[64:65], v[50:51]
	v_add_f64_e64 v[58:59], v[118:119], -v[130:131]
	v_add_f64_e64 v[72:73], v[46:47], -v[8:9]
	;; [unrolled: 1-line block ×3, first 2 shown]
	v_fma_f64 v[52:53], v[124:125], -0.5, v[52:53]
	v_add_f64_e64 v[124:125], v[28:29], -v[18:19]
	v_add_f64_e64 v[164:165], v[22:23], -v[24:25]
	v_fma_f64 v[62:63], v[62:63], -0.5, v[48:49]
	v_fma_f64 v[48:49], v[80:81], -0.5, v[48:49]
	;; [unrolled: 1-line block ×3, first 2 shown]
	v_add_f64_e32 v[178:179], v[2:3], v[28:29]
	v_add_f64_e32 v[82:83], v[150:151], v[82:83]
	v_add_f64_e64 v[150:151], v[70:71], -v[68:69]
	v_add_f64_e32 v[86:87], v[86:87], v[88:89]
	v_add_f64_e64 v[88:89], v[38:39], -v[76:77]
	v_add_f64_e32 v[12:13], v[46:47], v[12:13]
	v_add_f64_e32 v[46:47], v[70:71], v[138:139]
	v_fma_f64 v[92:93], v[92:93], -0.5, v[0:1]
	v_fma_f64 v[0:1], v[102:103], -0.5, v[0:1]
	v_add_f64_e32 v[108:109], v[108:109], v[110:111]
	v_add_f64_e64 v[110:111], v[16:17], -v[14:15]
	v_add_f64_e32 v[170:171], v[170:171], v[172:173]
	v_add_f64_e64 v[172:173], v[10:11], -v[20:21]
	v_add_f64_e32 v[212:213], v[212:213], v[214:215]
	v_add_f64_e32 v[214:215], v[136:137], v[14:15]
	v_add_f64_e64 v[154:155], v[34:35], -v[40:41]
	v_fma_f64 v[50:51], v[180:181], -0.5, v[50:51]
	v_add_f64_e64 v[180:181], v[68:69], -v[70:71]
	v_add_f64_e32 v[208:209], v[208:209], v[210:211]
	v_add_f64_e64 v[210:211], v[14:15], -v[16:17]
	v_add_f64_e32 v[34:35], v[34:35], v[44:45]
	v_add_f64_e64 v[44:45], v[20:21], -v[10:11]
	v_add_f64_e64 v[102:103], v[162:163], -v[128:129]
	v_add_f64_e32 v[162:163], v[226:227], v[228:229]
	v_add_f64_e32 v[228:229], v[230:231], v[232:233]
	v_add_f64_e64 v[14:15], v[14:15], -v[20:21]
	v_add_f64_e64 v[232:233], v[16:17], -v[10:11]
	;; [unrolled: 1-line block ×3, first 2 shown]
	v_fma_f64 v[78:79], v[78:79], -0.5, v[138:139]
	v_fma_f64 v[100:101], v[100:101], -0.5, v[138:139]
	;; [unrolled: 1-line block ×3, first 2 shown]
	v_add_f64_e32 v[216:217], v[216:217], v[222:223]
	v_add_f64_e64 v[222:223], v[32:33], -v[26:27]
	v_add_f64_e32 v[224:225], v[104:105], v[224:225]
	v_add_f64_e32 v[32:33], v[32:33], v[234:235]
	;; [unrolled: 1-line block ×3, first 2 shown]
	v_add_f64_e64 v[236:237], v[68:69], -v[76:77]
	v_fma_f64 v[136:137], v[174:175], -0.5, v[136:137]
	v_add_f64_e64 v[240:241], v[64:65], -v[36:37]
	v_add_f64_e64 v[242:243], v[84:85], -v[66:67]
	;; [unrolled: 1-line block ×5, first 2 shown]
	v_fma_f64 v[122:123], v[122:123], -0.5, v[2:3]
	v_fma_f64 v[2:3], v[168:169], -0.5, v[2:3]
	v_add_f64_e64 v[248:249], v[24:25], -v[22:23]
	v_add_f64_e64 v[148:149], v[148:149], -v[158:159]
	;; [unrolled: 1-line block ×5, first 2 shown]
	v_add_f64_e32 v[36:37], v[36:37], v[244:245]
	v_add_f64_e32 v[56:57], v[56:57], v[58:59]
	v_add_f64_e64 v[58:59], v[76:77], -v[38:39]
	v_add_f64_e64 v[30:31], v[30:31], -v[96:97]
	v_add_f64_e32 v[124:125], v[124:125], v[164:165]
	v_add_f64_e32 v[18:19], v[18:19], v[178:179]
	;; [unrolled: 1-line block ×4, first 2 shown]
	v_fma_f64 v[150:151], v[60:61], s[12:13], v[48:49]
	v_fma_f64 v[48:49], v[60:61], s[16:17], v[48:49]
	;; [unrolled: 1-line block ×4, first 2 shown]
	v_add_f64_e32 v[68:69], v[110:111], v[172:173]
	v_add_f64_e32 v[16:17], v[16:17], v[214:215]
	v_fma_f64 v[110:111], v[72:73], s[16:17], v[62:63]
	v_fma_f64 v[62:63], v[72:73], s[12:13], v[62:63]
	v_add_f64_e32 v[82:83], v[118:119], v[82:83]
	v_fma_f64 v[118:119], v[90:91], s[12:13], v[92:93]
	v_fma_f64 v[92:93], v[90:91], s[16:17], v[92:93]
	v_add_f64_e32 v[44:45], v[210:211], v[44:45]
	v_add_f64_e32 v[8:9], v[12:13], v[8:9]
	v_fma_f64 v[182:183], v[232:233], s[16:17], v[78:79]
	v_fma_f64 v[210:211], v[14:15], s[12:13], v[100:101]
	;; [unrolled: 1-line block ×6, first 2 shown]
	v_add_f64_e32 v[114:115], v[126:127], v[114:115]
	v_fma_f64 v[126:127], v[206:207], s[12:13], v[156:157]
	v_add_f64_e32 v[166:167], v[166:167], v[224:225]
	v_fma_f64 v[78:79], v[232:233], s[12:13], v[78:79]
	v_fma_f64 v[224:225], v[236:237], s[16:17], v[136:137]
	;; [unrolled: 1-line block ×4, first 2 shown]
	v_add_f64_e32 v[238:239], v[240:241], v[242:243]
	v_fma_f64 v[242:243], v[28:29], s[16:17], v[50:51]
	v_fma_f64 v[244:245], v[64:65], s[12:13], v[2:3]
	v_add_f64_e32 v[240:241], v[246:247], v[248:249]
	v_fma_f64 v[12:13], v[154:155], s[16:17], v[116:117]
	v_fma_f64 v[116:117], v[154:155], s[12:13], v[116:117]
	;; [unrolled: 1-line block ×8, first 2 shown]
	v_add_f64_e32 v[250:251], v[32:33], v[26:27]
	v_fma_f64 v[26:27], v[28:29], s[12:13], v[50:51]
	v_add_f64_e32 v[32:33], v[66:67], v[36:37]
	v_fma_f64 v[36:37], v[64:65], s[16:17], v[2:3]
	v_fma_f64 v[122:123], v[230:231], s[12:13], v[122:123]
	v_add_f64_e32 v[58:59], v[180:181], v[58:59]
	v_add_f64_e32 v[174:175], v[34:35], v[40:41]
	v_fma_f64 v[34:35], v[222:223], s[16:17], v[120:121]
	v_fma_f64 v[40:41], v[222:223], s[12:13], v[120:121]
	;; [unrolled: 1-line block ×7, first 2 shown]
	v_add_f64_e32 v[18:19], v[18:19], v[24:25]
	v_add_f64_e32 v[24:25], v[76:77], v[46:47]
	v_fma_f64 v[48:49], v[72:73], s[14:15], v[48:49]
	v_fma_f64 v[76:77], v[90:91], s[6:7], v[0:1]
	v_add_f64_e32 v[16:17], v[16:17], v[10:11]
	v_fma_f64 v[50:51], v[60:61], s[14:15], v[62:63]
	v_fma_f64 v[66:67], v[94:95], s[6:7], v[92:93]
	;; [unrolled: 1-line block ×6, first 2 shown]
	v_add_f64_e32 v[0:1], v[8:9], v[42:43]
	v_fma_f64 v[42:43], v[14:15], s[6:7], v[182:183]
	v_fma_f64 v[100:101], v[232:233], s[14:15], v[100:101]
	;; [unrolled: 1-line block ×9, first 2 shown]
	v_add_f64_e32 v[2:3], v[130:131], v[82:83]
	v_fma_f64 v[78:79], v[232:233], s[6:7], v[210:211]
	v_fma_f64 v[130:131], v[236:237], s[14:15], v[138:139]
	v_fma_f64 v[136:137], v[226:227], s[14:15], v[242:243]
	v_fma_f64 v[138:139], v[230:231], s[6:7], v[244:245]
	v_fma_f64 v[82:83], v[152:153], s[6:7], v[12:13]
	v_fma_f64 v[90:91], v[152:153], s[14:15], v[116:117]
	v_fma_f64 v[92:93], v[154:155], s[6:7], v[168:169]
	v_fma_f64 v[116:117], v[148:149], s[6:7], v[156:157]
	v_fma_f64 v[148:149], v[206:207], s[14:15], v[172:173]
	v_fma_f64 v[80:81], v[28:29], s[14:15], v[80:81]
	v_fma_f64 v[152:153], v[64:65], s[6:7], v[248:249]
	v_fma_f64 v[168:169], v[102:103], s[14:15], v[178:179]
	v_fma_f64 v[172:173], v[226:227], s[6:7], v[26:27]
	v_fma_f64 v[178:179], v[230:231], s[14:15], v[36:37]
	v_fma_f64 v[150:151], v[28:29], s[6:7], v[246:247]
	v_fma_f64 v[64:65], v[64:65], s[14:15], v[122:123]
	v_fma_f64 v[164:165], v[222:223], s[14:15], v[52:53]
	v_fma_f64 v[102:103], v[102:103], s[6:7], v[160:161]
	v_fma_f64 v[160:161], v[104:105], s[14:15], v[180:181]
	v_fma_f64 v[104:105], v[104:105], s[6:7], v[4:5]
	v_add_f64_e32 v[10:11], v[38:39], v[24:25]
	v_fma_f64 v[26:27], v[74:75], s[2:3], v[48:49]
	v_fma_f64 v[24:25], v[98:99], s[2:3], v[76:77]
	v_add_f64_e32 v[4:5], v[18:19], v[22:23]
	v_add_f64_e32 v[8:9], v[16:17], v[20:21]
	v_fma_f64 v[18:19], v[56:57], s[2:3], v[50:51]
	v_fma_f64 v[16:17], v[86:87], s[2:3], v[66:67]
	;; [unrolled: 1-line block ×12, first 2 shown]
	v_add_f64_e32 v[6:7], v[84:85], v[32:33]
	v_fma_f64 v[34:35], v[58:59], s[2:3], v[54:55]
	v_fma_f64 v[32:33], v[68:69], s[2:3], v[126:127]
	;; [unrolled: 1-line block ×7, first 2 shown]
	v_add_f64_e32 v[62:63], v[128:129], v[166:167]
	v_add_f64_e32 v[60:61], v[250:251], v[96:97]
	v_fma_f64 v[58:59], v[234:235], s[2:3], v[80:81]
	v_fma_f64 v[56:57], v[240:241], s[2:3], v[152:153]
	;; [unrolled: 1-line block ×9, first 2 shown]
	global_store_b128 v[190:191], v[0:3], off
	v_fma_f64 v[92:93], v[228:229], s[2:3], v[104:105]
	s_clause 0xa
	global_store_b128 v[185:186], v[24:27], off
	global_store_b128 v[196:197], v[16:19], off
	;; [unrolled: 1-line block ×11, first 2 shown]
	v_mad_co_u64_u32 v[6:7], null, s9, v189, v[141:142]
	v_fma_f64 v[120:121], v[222:223], s[6:7], v[120:121]
	v_mov_b32_e32 v7, v221
	v_lshlrev_b64_e32 v[4:5], 4, v[218:219]
	v_add_nc_u32_e32 v13, 0x2cb, v184
	v_add_nc_u32_e32 v15, 0x3de, v184
	v_fma_f64 v[86:87], v[212:213], s[2:3], v[156:157]
	v_mov_b32_e32 v141, v6
	v_mad_co_u64_u32 v[6:7], null, s9, v252, v[7:8]
	v_mad_co_u64_u32 v[7:8], null, s8, v13, 0
	v_add_co_u32 v4, vcc_lo, v142, v4
	s_wait_alu 0xfffd
	v_add_co_ci_u32_e32 v5, vcc_lo, v143, v5, vcc_lo
	v_mad_co_u64_u32 v[9:10], null, s8, v15, 0
	v_fma_f64 v[84:85], v[162:163], s[2:3], v[102:103]
	s_clause 0x2
	global_store_b128 v[144:145], v[56:59], off
	global_store_b128 v[146:147], v[52:55], off
	;; [unrolled: 1-line block ×3, first 2 shown]
	v_lshlrev_b64_e32 v[4:5], 4, v[140:141]
	v_dual_mov_b32 v221, v6 :: v_dual_mov_b32 v6, v8
	v_mul_hi_u32 v17, 0xdca01dcb, v187
	v_fma_f64 v[2:3], v[108:109], s[2:3], v[82:83]
	v_fma_f64 v[82:83], v[212:213], s[2:3], v[154:155]
	;; [unrolled: 1-line block ×3, first 2 shown]
	v_lshlrev_b64_e32 v[11:12], 4, v[220:221]
	v_mov_b32_e32 v8, v10
	v_mad_co_u64_u32 v[13:14], null, s9, v13, v[6:7]
	v_add_co_u32 v4, vcc_lo, v142, v4
	v_add_nc_u32_e32 v18, 0x4f1, v184
	s_wait_alu 0xfffd
	v_add_co_ci_u32_e32 v5, vcc_lo, v143, v5, vcc_lo
	v_sub_nc_u32_e32 v6, v187, v17
	v_mad_co_u64_u32 v[14:15], null, s9, v15, v[8:9]
	v_mad_co_u64_u32 v[15:16], null, s8, v18, 0
	v_add_co_u32 v11, vcc_lo, v142, v11
	s_wait_alu 0xfffd
	v_add_co_ci_u32_e32 v12, vcc_lo, v143, v12, vcc_lo
	global_store_b128 v[4:5], v[60:63], off
	v_lshrrev_b32_e32 v5, 1, v6
	v_mov_b32_e32 v8, v13
	global_store_b128 v[11:12], v[92:95], off
	v_mov_b32_e32 v10, v14
	v_dual_mov_b32 v4, v16 :: v_dual_add_nc_u32 v11, v5, v17
	v_lshlrev_b64_e32 v[5:6], 4, v[7:8]
	v_fma_f64 v[66:67], v[108:109], s[2:3], v[90:91]
	v_fma_f64 v[90:91], v[216:217], s[2:3], v[120:121]
	;; [unrolled: 1-line block ×3, first 2 shown]
	v_lshlrev_b64_e32 v[7:8], 4, v[9:10]
	v_add_f64_e32 v[50:51], v[158:159], v[114:115]
	v_mad_co_u64_u32 v[9:10], null, s9, v18, v[4:5]
	v_lshrrev_b32_e32 v10, 8, v11
	v_add_co_u32 v4, vcc_lo, v142, v5
	s_wait_alu 0xfffd
	v_add_co_ci_u32_e32 v5, vcc_lo, v143, v6, vcc_lo
	s_delay_alu instid0(VALU_DEP_3)
	v_mad_u32_u24 v17, 0x44c, v10, v187
	v_mov_b32_e32 v16, v9
	v_add_co_u32 v6, vcc_lo, v142, v7
	global_store_b128 v[4:5], v[84:87], off
	v_add_nc_u32_e32 v20, 0x44c, v17
	v_lshlrev_b64_e32 v[4:5], 4, v[15:16]
	v_add_nc_u32_e32 v16, 0x226, v17
	s_wait_alu 0xfffd
	v_add_co_ci_u32_e32 v7, vcc_lo, v143, v8, vcc_lo
	v_add_nc_u32_e32 v14, 0x113, v17
	v_mad_co_u64_u32 v[8:9], null, s8, v17, 0
	v_mad_co_u64_u32 v[10:11], null, s8, v16, 0
	global_store_b128 v[6:7], v[80:83], off
	v_mad_co_u64_u32 v[6:7], null, s8, v14, 0
	v_add_nc_u32_e32 v19, 0x339, v17
	v_add_co_u32 v4, vcc_lo, v142, v4
	v_mad_co_u64_u32 v[12:13], null, s9, v17, v[9:10]
	v_add_f64_e32 v[48:49], v[174:175], v[112:113]
	v_mad_co_u64_u32 v[13:14], null, s9, v14, v[7:8]
	v_mov_b32_e32 v7, v11
	v_mad_co_u64_u32 v[14:15], null, s8, v19, 0
	s_wait_alu 0xfffd
	v_add_co_ci_u32_e32 v5, vcc_lo, v143, v5, vcc_lo
	v_fma_f64 v[72:73], v[208:209], s[2:3], v[122:123]
	v_fma_f64 v[64:65], v[176:177], s[2:3], v[116:117]
	v_mad_co_u64_u32 v[16:17], null, s9, v16, v[7:8]
	v_fma_f64 v[0:1], v[176:177], s[2:3], v[110:111]
	v_mad_co_u64_u32 v[17:18], null, s8, v20, 0
	v_fma_f64 v[68:69], v[208:209], s[2:3], v[148:149]
	global_store_b128 v[4:5], v[88:91], off
	v_dual_mov_b32 v4, v15 :: v_dual_mov_b32 v7, v13
	v_mov_b32_e32 v9, v12
	v_mov_b32_e32 v11, v16
	s_delay_alu instid0(VALU_DEP_3) | instskip(NEXT) | instid1(VALU_DEP_4)
	v_mad_co_u64_u32 v[4:5], null, s9, v19, v[4:5]
	v_lshlrev_b64_e32 v[6:7], 4, v[6:7]
	v_mov_b32_e32 v5, v18
	v_lshlrev_b64_e32 v[8:9], 4, v[8:9]
	v_lshlrev_b64_e32 v[10:11], 4, v[10:11]
	s_delay_alu instid0(VALU_DEP_3) | instskip(NEXT) | instid1(VALU_DEP_3)
	v_mad_co_u64_u32 v[12:13], null, s9, v20, v[5:6]
	v_add_co_u32 v8, vcc_lo, v142, v8
	v_mov_b32_e32 v15, v4
	s_wait_alu 0xfffd
	v_add_co_ci_u32_e32 v9, vcc_lo, v143, v9, vcc_lo
	v_add_co_u32 v4, vcc_lo, v142, v6
	v_mov_b32_e32 v18, v12
	s_wait_alu 0xfffd
	v_add_co_ci_u32_e32 v5, vcc_lo, v143, v7, vcc_lo
	v_lshlrev_b64_e32 v[6:7], 4, v[14:15]
	v_add_co_u32 v10, vcc_lo, v142, v10
	v_lshlrev_b64_e32 v[12:13], 4, v[17:18]
	s_wait_alu 0xfffd
	v_add_co_ci_u32_e32 v11, vcc_lo, v143, v11, vcc_lo
	s_delay_alu instid0(VALU_DEP_4)
	v_add_co_u32 v6, vcc_lo, v142, v6
	s_wait_alu 0xfffd
	v_add_co_ci_u32_e32 v7, vcc_lo, v143, v7, vcc_lo
	v_add_co_u32 v12, vcc_lo, v142, v12
	s_wait_alu 0xfffd
	v_add_co_ci_u32_e32 v13, vcc_lo, v143, v13, vcc_lo
	s_clause 0x4
	global_store_b128 v[8:9], v[48:51], off
	global_store_b128 v[4:5], v[72:75], off
	;; [unrolled: 1-line block ×5, first 2 shown]
.LBB0_21:
	s_nop 0
	s_sendmsg sendmsg(MSG_DEALLOC_VGPRS)
	s_endpgm
	.section	.rodata,"a",@progbits
	.p2align	6, 0x0
	.amdhsa_kernel fft_rtc_fwd_len1375_factors_11_5_5_5_wgs_55_tpt_55_halfLds_dp_ip_CI_sbrr_dirReg
		.amdhsa_group_segment_fixed_size 0
		.amdhsa_private_segment_fixed_size 0
		.amdhsa_kernarg_size 88
		.amdhsa_user_sgpr_count 2
		.amdhsa_user_sgpr_dispatch_ptr 0
		.amdhsa_user_sgpr_queue_ptr 0
		.amdhsa_user_sgpr_kernarg_segment_ptr 1
		.amdhsa_user_sgpr_dispatch_id 0
		.amdhsa_user_sgpr_private_segment_size 0
		.amdhsa_wavefront_size32 1
		.amdhsa_uses_dynamic_stack 0
		.amdhsa_enable_private_segment 0
		.amdhsa_system_sgpr_workgroup_id_x 1
		.amdhsa_system_sgpr_workgroup_id_y 0
		.amdhsa_system_sgpr_workgroup_id_z 0
		.amdhsa_system_sgpr_workgroup_info 0
		.amdhsa_system_vgpr_workitem_id 0
		.amdhsa_next_free_vgpr 255
		.amdhsa_next_free_sgpr 38
		.amdhsa_reserve_vcc 1
		.amdhsa_float_round_mode_32 0
		.amdhsa_float_round_mode_16_64 0
		.amdhsa_float_denorm_mode_32 3
		.amdhsa_float_denorm_mode_16_64 3
		.amdhsa_fp16_overflow 0
		.amdhsa_workgroup_processor_mode 1
		.amdhsa_memory_ordered 1
		.amdhsa_forward_progress 0
		.amdhsa_round_robin_scheduling 0
		.amdhsa_exception_fp_ieee_invalid_op 0
		.amdhsa_exception_fp_denorm_src 0
		.amdhsa_exception_fp_ieee_div_zero 0
		.amdhsa_exception_fp_ieee_overflow 0
		.amdhsa_exception_fp_ieee_underflow 0
		.amdhsa_exception_fp_ieee_inexact 0
		.amdhsa_exception_int_div_zero 0
	.end_amdhsa_kernel
	.text
.Lfunc_end0:
	.size	fft_rtc_fwd_len1375_factors_11_5_5_5_wgs_55_tpt_55_halfLds_dp_ip_CI_sbrr_dirReg, .Lfunc_end0-fft_rtc_fwd_len1375_factors_11_5_5_5_wgs_55_tpt_55_halfLds_dp_ip_CI_sbrr_dirReg
                                        ; -- End function
	.section	.AMDGPU.csdata,"",@progbits
; Kernel info:
; codeLenInByte = 22228
; NumSgprs: 40
; NumVgprs: 255
; ScratchSize: 0
; MemoryBound: 1
; FloatMode: 240
; IeeeMode: 1
; LDSByteSize: 0 bytes/workgroup (compile time only)
; SGPRBlocks: 4
; VGPRBlocks: 31
; NumSGPRsForWavesPerEU: 40
; NumVGPRsForWavesPerEU: 255
; Occupancy: 5
; WaveLimiterHint : 1
; COMPUTE_PGM_RSRC2:SCRATCH_EN: 0
; COMPUTE_PGM_RSRC2:USER_SGPR: 2
; COMPUTE_PGM_RSRC2:TRAP_HANDLER: 0
; COMPUTE_PGM_RSRC2:TGID_X_EN: 1
; COMPUTE_PGM_RSRC2:TGID_Y_EN: 0
; COMPUTE_PGM_RSRC2:TGID_Z_EN: 0
; COMPUTE_PGM_RSRC2:TIDIG_COMP_CNT: 0
	.text
	.p2alignl 7, 3214868480
	.fill 96, 4, 3214868480
	.type	__hip_cuid_74662f0f50afc66b,@object ; @__hip_cuid_74662f0f50afc66b
	.section	.bss,"aw",@nobits
	.globl	__hip_cuid_74662f0f50afc66b
__hip_cuid_74662f0f50afc66b:
	.byte	0                               ; 0x0
	.size	__hip_cuid_74662f0f50afc66b, 1

	.ident	"AMD clang version 19.0.0git (https://github.com/RadeonOpenCompute/llvm-project roc-6.4.0 25133 c7fe45cf4b819c5991fe208aaa96edf142730f1d)"
	.section	".note.GNU-stack","",@progbits
	.addrsig
	.addrsig_sym __hip_cuid_74662f0f50afc66b
	.amdgpu_metadata
---
amdhsa.kernels:
  - .args:
      - .actual_access:  read_only
        .address_space:  global
        .offset:         0
        .size:           8
        .value_kind:     global_buffer
      - .offset:         8
        .size:           8
        .value_kind:     by_value
      - .actual_access:  read_only
        .address_space:  global
        .offset:         16
        .size:           8
        .value_kind:     global_buffer
      - .actual_access:  read_only
        .address_space:  global
        .offset:         24
        .size:           8
        .value_kind:     global_buffer
      - .offset:         32
        .size:           8
        .value_kind:     by_value
      - .actual_access:  read_only
        .address_space:  global
        .offset:         40
        .size:           8
        .value_kind:     global_buffer
      - .actual_access:  read_only
        .address_space:  global
        .offset:         48
        .size:           8
        .value_kind:     global_buffer
      - .offset:         56
        .size:           4
        .value_kind:     by_value
      - .actual_access:  read_only
        .address_space:  global
        .offset:         64
        .size:           8
        .value_kind:     global_buffer
      - .actual_access:  read_only
        .address_space:  global
        .offset:         72
        .size:           8
        .value_kind:     global_buffer
      - .address_space:  global
        .offset:         80
        .size:           8
        .value_kind:     global_buffer
    .group_segment_fixed_size: 0
    .kernarg_segment_align: 8
    .kernarg_segment_size: 88
    .language:       OpenCL C
    .language_version:
      - 2
      - 0
    .max_flat_workgroup_size: 55
    .name:           fft_rtc_fwd_len1375_factors_11_5_5_5_wgs_55_tpt_55_halfLds_dp_ip_CI_sbrr_dirReg
    .private_segment_fixed_size: 0
    .sgpr_count:     40
    .sgpr_spill_count: 0
    .symbol:         fft_rtc_fwd_len1375_factors_11_5_5_5_wgs_55_tpt_55_halfLds_dp_ip_CI_sbrr_dirReg.kd
    .uniform_work_group_size: 1
    .uses_dynamic_stack: false
    .vgpr_count:     255
    .vgpr_spill_count: 0
    .wavefront_size: 32
    .workgroup_processor_mode: 1
amdhsa.target:   amdgcn-amd-amdhsa--gfx1201
amdhsa.version:
  - 1
  - 2
...

	.end_amdgpu_metadata
